;; amdgpu-corpus repo=ROCm/rocFFT kind=compiled arch=gfx1201 opt=O3
	.text
	.amdgcn_target "amdgcn-amd-amdhsa--gfx1201"
	.amdhsa_code_object_version 6
	.protected	fft_rtc_back_len1122_factors_17_11_6_wgs_204_tpt_102_halfLds_sp_op_CI_CI_unitstride_sbrr_dirReg ; -- Begin function fft_rtc_back_len1122_factors_17_11_6_wgs_204_tpt_102_halfLds_sp_op_CI_CI_unitstride_sbrr_dirReg
	.globl	fft_rtc_back_len1122_factors_17_11_6_wgs_204_tpt_102_halfLds_sp_op_CI_CI_unitstride_sbrr_dirReg
	.p2align	8
	.type	fft_rtc_back_len1122_factors_17_11_6_wgs_204_tpt_102_halfLds_sp_op_CI_CI_unitstride_sbrr_dirReg,@function
fft_rtc_back_len1122_factors_17_11_6_wgs_204_tpt_102_halfLds_sp_op_CI_CI_unitstride_sbrr_dirReg: ; @fft_rtc_back_len1122_factors_17_11_6_wgs_204_tpt_102_halfLds_sp_op_CI_CI_unitstride_sbrr_dirReg
; %bb.0:
	s_clause 0x2
	s_load_b128 s[4:7], s[0:1], 0x0
	s_load_b128 s[8:11], s[0:1], 0x58
	;; [unrolled: 1-line block ×3, first 2 shown]
	v_mul_u32_u24_e32 v1, 0x283, v0
	v_mov_b32_e32 v3, 0
	v_mov_b32_e32 v7, 0
	;; [unrolled: 1-line block ×3, first 2 shown]
	s_delay_alu instid0(VALU_DEP_4) | instskip(NEXT) | instid1(VALU_DEP_4)
	v_lshrrev_b32_e32 v57, 16, v1
	v_mov_b32_e32 v10, v3
	s_delay_alu instid0(VALU_DEP_2) | instskip(SKIP_2) | instid1(VALU_DEP_1)
	v_lshl_add_u32 v9, ttmp9, 1, v57
	s_wait_kmcnt 0x0
	v_cmp_lt_u64_e64 s2, s[6:7], 2
	s_and_b32 vcc_lo, exec_lo, s2
	s_cbranch_vccnz .LBB0_8
; %bb.1:
	s_load_b64 s[2:3], s[0:1], 0x10
	v_mov_b32_e32 v7, 0
	v_mov_b32_e32 v8, 0
	s_delay_alu instid0(VALU_DEP_2)
	v_mov_b32_e32 v1, v7
	s_add_nc_u64 s[16:17], s[14:15], 8
	s_add_nc_u64 s[18:19], s[12:13], 8
	s_mov_b64 s[20:21], 1
	v_mov_b32_e32 v2, v8
	s_wait_kmcnt 0x0
	s_add_nc_u64 s[22:23], s[2:3], 8
	s_mov_b32 s3, 0
.LBB0_2:                                ; =>This Inner Loop Header: Depth=1
	s_load_b64 s[24:25], s[22:23], 0x0
                                        ; implicit-def: $vgpr5_vgpr6
	s_mov_b32 s2, exec_lo
	s_wait_kmcnt 0x0
	v_or_b32_e32 v4, s25, v10
	s_delay_alu instid0(VALU_DEP_1)
	v_cmpx_ne_u64_e32 0, v[3:4]
	s_wait_alu 0xfffe
	s_xor_b32 s26, exec_lo, s2
	s_cbranch_execz .LBB0_4
; %bb.3:                                ;   in Loop: Header=BB0_2 Depth=1
	s_cvt_f32_u32 s2, s24
	s_cvt_f32_u32 s27, s25
	s_sub_nc_u64 s[30:31], 0, s[24:25]
	s_wait_alu 0xfffe
	s_delay_alu instid0(SALU_CYCLE_1) | instskip(SKIP_1) | instid1(SALU_CYCLE_2)
	s_fmamk_f32 s2, s27, 0x4f800000, s2
	s_wait_alu 0xfffe
	v_s_rcp_f32 s2, s2
	s_delay_alu instid0(TRANS32_DEP_1) | instskip(SKIP_1) | instid1(SALU_CYCLE_2)
	s_mul_f32 s2, s2, 0x5f7ffffc
	s_wait_alu 0xfffe
	s_mul_f32 s27, s2, 0x2f800000
	s_wait_alu 0xfffe
	s_delay_alu instid0(SALU_CYCLE_2) | instskip(SKIP_1) | instid1(SALU_CYCLE_2)
	s_trunc_f32 s27, s27
	s_wait_alu 0xfffe
	s_fmamk_f32 s2, s27, 0xcf800000, s2
	s_cvt_u32_f32 s29, s27
	s_wait_alu 0xfffe
	s_delay_alu instid0(SALU_CYCLE_1) | instskip(SKIP_1) | instid1(SALU_CYCLE_2)
	s_cvt_u32_f32 s28, s2
	s_wait_alu 0xfffe
	s_mul_u64 s[34:35], s[30:31], s[28:29]
	s_wait_alu 0xfffe
	s_mul_hi_u32 s37, s28, s35
	s_mul_i32 s36, s28, s35
	s_mul_hi_u32 s2, s28, s34
	s_mul_i32 s33, s29, s34
	s_wait_alu 0xfffe
	s_add_nc_u64 s[36:37], s[2:3], s[36:37]
	s_mul_hi_u32 s27, s29, s34
	s_mul_hi_u32 s38, s29, s35
	s_add_co_u32 s2, s36, s33
	s_wait_alu 0xfffe
	s_add_co_ci_u32 s2, s37, s27
	s_mul_i32 s34, s29, s35
	s_add_co_ci_u32 s35, s38, 0
	s_wait_alu 0xfffe
	s_add_nc_u64 s[34:35], s[2:3], s[34:35]
	s_wait_alu 0xfffe
	v_add_co_u32 v4, s2, s28, s34
	s_delay_alu instid0(VALU_DEP_1) | instskip(SKIP_1) | instid1(VALU_DEP_1)
	s_cmp_lg_u32 s2, 0
	s_add_co_ci_u32 s29, s29, s35
	v_readfirstlane_b32 s28, v4
	s_wait_alu 0xfffe
	s_delay_alu instid0(VALU_DEP_1)
	s_mul_u64 s[30:31], s[30:31], s[28:29]
	s_wait_alu 0xfffe
	s_mul_hi_u32 s35, s28, s31
	s_mul_i32 s34, s28, s31
	s_mul_hi_u32 s2, s28, s30
	s_mul_i32 s33, s29, s30
	s_wait_alu 0xfffe
	s_add_nc_u64 s[34:35], s[2:3], s[34:35]
	s_mul_hi_u32 s27, s29, s30
	s_mul_hi_u32 s28, s29, s31
	s_wait_alu 0xfffe
	s_add_co_u32 s2, s34, s33
	s_add_co_ci_u32 s2, s35, s27
	s_mul_i32 s30, s29, s31
	s_add_co_ci_u32 s31, s28, 0
	s_wait_alu 0xfffe
	s_add_nc_u64 s[30:31], s[2:3], s[30:31]
	s_wait_alu 0xfffe
	v_add_co_u32 v6, s2, v4, s30
	s_delay_alu instid0(VALU_DEP_1) | instskip(SKIP_1) | instid1(VALU_DEP_1)
	s_cmp_lg_u32 s2, 0
	s_add_co_ci_u32 s2, s29, s31
	v_mul_hi_u32 v15, v9, v6
	s_wait_alu 0xfffe
	v_mad_co_u64_u32 v[4:5], null, v9, s2, 0
	v_mad_co_u64_u32 v[11:12], null, v10, v6, 0
	;; [unrolled: 1-line block ×3, first 2 shown]
	s_delay_alu instid0(VALU_DEP_3) | instskip(SKIP_1) | instid1(VALU_DEP_4)
	v_add_co_u32 v4, vcc_lo, v15, v4
	s_wait_alu 0xfffd
	v_add_co_ci_u32_e32 v5, vcc_lo, 0, v5, vcc_lo
	s_delay_alu instid0(VALU_DEP_2) | instskip(SKIP_1) | instid1(VALU_DEP_2)
	v_add_co_u32 v4, vcc_lo, v4, v11
	s_wait_alu 0xfffd
	v_add_co_ci_u32_e32 v4, vcc_lo, v5, v12, vcc_lo
	s_wait_alu 0xfffd
	v_add_co_ci_u32_e32 v5, vcc_lo, 0, v14, vcc_lo
	s_delay_alu instid0(VALU_DEP_2) | instskip(SKIP_1) | instid1(VALU_DEP_2)
	v_add_co_u32 v11, vcc_lo, v4, v13
	s_wait_alu 0xfffd
	v_add_co_ci_u32_e32 v6, vcc_lo, 0, v5, vcc_lo
	s_delay_alu instid0(VALU_DEP_2) | instskip(SKIP_1) | instid1(VALU_DEP_3)
	v_mul_lo_u32 v12, s25, v11
	v_mad_co_u64_u32 v[4:5], null, s24, v11, 0
	v_mul_lo_u32 v13, s24, v6
	s_delay_alu instid0(VALU_DEP_2) | instskip(NEXT) | instid1(VALU_DEP_2)
	v_sub_co_u32 v4, vcc_lo, v9, v4
	v_add3_u32 v5, v5, v13, v12
	s_delay_alu instid0(VALU_DEP_1) | instskip(SKIP_1) | instid1(VALU_DEP_1)
	v_sub_nc_u32_e32 v12, v10, v5
	s_wait_alu 0xfffd
	v_subrev_co_ci_u32_e64 v12, s2, s25, v12, vcc_lo
	v_add_co_u32 v13, s2, v11, 2
	s_wait_alu 0xf1ff
	v_add_co_ci_u32_e64 v14, s2, 0, v6, s2
	v_sub_co_u32 v15, s2, v4, s24
	v_sub_co_ci_u32_e32 v5, vcc_lo, v10, v5, vcc_lo
	s_wait_alu 0xf1ff
	v_subrev_co_ci_u32_e64 v12, s2, 0, v12, s2
	s_delay_alu instid0(VALU_DEP_3) | instskip(NEXT) | instid1(VALU_DEP_3)
	v_cmp_le_u32_e32 vcc_lo, s24, v15
	v_cmp_eq_u32_e64 s2, s25, v5
	s_wait_alu 0xfffd
	v_cndmask_b32_e64 v15, 0, -1, vcc_lo
	v_cmp_le_u32_e32 vcc_lo, s25, v12
	s_wait_alu 0xfffd
	v_cndmask_b32_e64 v16, 0, -1, vcc_lo
	v_cmp_le_u32_e32 vcc_lo, s24, v4
	;; [unrolled: 3-line block ×3, first 2 shown]
	s_wait_alu 0xfffd
	v_cndmask_b32_e64 v17, 0, -1, vcc_lo
	v_cmp_eq_u32_e32 vcc_lo, s25, v12
	s_wait_alu 0xf1ff
	s_delay_alu instid0(VALU_DEP_2)
	v_cndmask_b32_e64 v4, v17, v4, s2
	s_wait_alu 0xfffd
	v_cndmask_b32_e32 v12, v16, v15, vcc_lo
	v_add_co_u32 v15, vcc_lo, v11, 1
	s_wait_alu 0xfffd
	v_add_co_ci_u32_e32 v16, vcc_lo, 0, v6, vcc_lo
	s_delay_alu instid0(VALU_DEP_3) | instskip(SKIP_1) | instid1(VALU_DEP_2)
	v_cmp_ne_u32_e32 vcc_lo, 0, v12
	s_wait_alu 0xfffd
	v_dual_cndmask_b32 v5, v16, v14 :: v_dual_cndmask_b32 v12, v15, v13
	v_cmp_ne_u32_e32 vcc_lo, 0, v4
	s_wait_alu 0xfffd
	s_delay_alu instid0(VALU_DEP_2)
	v_dual_cndmask_b32 v6, v6, v5 :: v_dual_cndmask_b32 v5, v11, v12
.LBB0_4:                                ;   in Loop: Header=BB0_2 Depth=1
	s_wait_alu 0xfffe
	s_and_not1_saveexec_b32 s2, s26
	s_cbranch_execz .LBB0_6
; %bb.5:                                ;   in Loop: Header=BB0_2 Depth=1
	v_cvt_f32_u32_e32 v4, s24
	s_sub_co_i32 s26, 0, s24
	s_delay_alu instid0(VALU_DEP_1) | instskip(NEXT) | instid1(TRANS32_DEP_1)
	v_rcp_iflag_f32_e32 v4, v4
	v_mul_f32_e32 v4, 0x4f7ffffe, v4
	s_delay_alu instid0(VALU_DEP_1) | instskip(SKIP_1) | instid1(VALU_DEP_1)
	v_cvt_u32_f32_e32 v4, v4
	s_wait_alu 0xfffe
	v_mul_lo_u32 v5, s26, v4
	s_delay_alu instid0(VALU_DEP_1) | instskip(NEXT) | instid1(VALU_DEP_1)
	v_mul_hi_u32 v5, v4, v5
	v_add_nc_u32_e32 v4, v4, v5
	s_delay_alu instid0(VALU_DEP_1) | instskip(NEXT) | instid1(VALU_DEP_1)
	v_mul_hi_u32 v4, v9, v4
	v_mul_lo_u32 v5, v4, s24
	v_add_nc_u32_e32 v6, 1, v4
	s_delay_alu instid0(VALU_DEP_2) | instskip(NEXT) | instid1(VALU_DEP_1)
	v_sub_nc_u32_e32 v5, v9, v5
	v_subrev_nc_u32_e32 v11, s24, v5
	v_cmp_le_u32_e32 vcc_lo, s24, v5
	s_wait_alu 0xfffd
	s_delay_alu instid0(VALU_DEP_2) | instskip(NEXT) | instid1(VALU_DEP_1)
	v_dual_cndmask_b32 v5, v5, v11 :: v_dual_cndmask_b32 v4, v4, v6
	v_cmp_le_u32_e32 vcc_lo, s24, v5
	s_delay_alu instid0(VALU_DEP_2) | instskip(SKIP_1) | instid1(VALU_DEP_1)
	v_add_nc_u32_e32 v6, 1, v4
	s_wait_alu 0xfffd
	v_dual_cndmask_b32 v5, v4, v6 :: v_dual_mov_b32 v6, v3
.LBB0_6:                                ;   in Loop: Header=BB0_2 Depth=1
	s_wait_alu 0xfffe
	s_or_b32 exec_lo, exec_lo, s2
	s_delay_alu instid0(VALU_DEP_1) | instskip(NEXT) | instid1(VALU_DEP_2)
	v_mul_lo_u32 v4, v6, s24
	v_mul_lo_u32 v13, v5, s25
	s_load_b64 s[26:27], s[18:19], 0x0
	v_mad_co_u64_u32 v[11:12], null, v5, s24, 0
	s_load_b64 s[24:25], s[16:17], 0x0
	s_add_nc_u64 s[20:21], s[20:21], 1
	s_add_nc_u64 s[16:17], s[16:17], 8
	s_wait_alu 0xfffe
	v_cmp_ge_u64_e64 s2, s[20:21], s[6:7]
	s_add_nc_u64 s[18:19], s[18:19], 8
	s_add_nc_u64 s[22:23], s[22:23], 8
	v_add3_u32 v4, v12, v13, v4
	v_sub_co_u32 v9, vcc_lo, v9, v11
	s_wait_alu 0xfffd
	s_delay_alu instid0(VALU_DEP_2) | instskip(SKIP_2) | instid1(VALU_DEP_1)
	v_sub_co_ci_u32_e32 v4, vcc_lo, v10, v4, vcc_lo
	s_and_b32 vcc_lo, exec_lo, s2
	s_wait_kmcnt 0x0
	v_mul_lo_u32 v10, s26, v4
	v_mul_lo_u32 v11, s27, v9
	v_mad_co_u64_u32 v[7:8], null, s26, v9, v[7:8]
	v_mul_lo_u32 v4, s24, v4
	v_mul_lo_u32 v12, s25, v9
	v_mad_co_u64_u32 v[1:2], null, s24, v9, v[1:2]
	s_delay_alu instid0(VALU_DEP_4) | instskip(NEXT) | instid1(VALU_DEP_2)
	v_add3_u32 v8, v11, v8, v10
	v_add3_u32 v2, v12, v2, v4
	s_wait_alu 0xfffe
	s_cbranch_vccnz .LBB0_9
; %bb.7:                                ;   in Loop: Header=BB0_2 Depth=1
	v_dual_mov_b32 v10, v6 :: v_dual_mov_b32 v9, v5
	s_branch .LBB0_2
.LBB0_8:
	v_dual_mov_b32 v1, v7 :: v_dual_mov_b32 v2, v8
	v_dual_mov_b32 v5, v9 :: v_dual_mov_b32 v6, v10
.LBB0_9:
	s_load_b64 s[0:1], s[0:1], 0x28
	v_mul_hi_u32 v3, 0x2828283, v0
	v_dual_mov_b32 v11, 0 :: v_dual_mov_b32 v10, 0
	s_lshl_b64 s[2:3], s[6:7], 3
                                        ; implicit-def: $vgpr39
                                        ; implicit-def: $vgpr41
                                        ; implicit-def: $vgpr43
                                        ; implicit-def: $vgpr37
                                        ; implicit-def: $vgpr35
                                        ; implicit-def: $vgpr21
                                        ; implicit-def: $vgpr23
                                        ; implicit-def: $vgpr25
                                        ; implicit-def: $vgpr13
                                        ; implicit-def: $vgpr15
                                        ; implicit-def: $vgpr17
                                        ; implicit-def: $vgpr19
                                        ; implicit-def: $vgpr27
                                        ; implicit-def: $vgpr29
                                        ; implicit-def: $vgpr31
                                        ; implicit-def: $vgpr33
	s_delay_alu instid0(VALU_DEP_2) | instskip(NEXT) | instid1(VALU_DEP_1)
	v_mul_u32_u24_e32 v3, 0x66, v3
	v_sub_nc_u32_e32 v3, v0, v3
	s_wait_kmcnt 0x0
	v_cmp_gt_u64_e32 vcc_lo, s[0:1], v[5:6]
	s_delay_alu instid0(VALU_DEP_2) | instskip(NEXT) | instid1(VALU_DEP_1)
	v_cmp_gt_u32_e64 s0, 0x42, v3
	s_and_b32 s1, vcc_lo, s0
	s_wait_alu 0xfffe
	s_and_saveexec_b32 s6, s1
	s_cbranch_execz .LBB0_11
; %bb.10:
	s_add_nc_u64 s[12:13], s[12:13], s[2:3]
	v_lshlrev_b64_e32 v[7:8], 3, v[7:8]
	s_load_b64 s[12:13], s[12:13], 0x0
	s_wait_kmcnt 0x0
	v_mul_lo_u32 v0, s13, v5
	v_mul_lo_u32 v4, s12, v6
	v_mad_co_u64_u32 v[9:10], null, s12, v5, 0
	s_delay_alu instid0(VALU_DEP_1) | instskip(SKIP_1) | instid1(VALU_DEP_2)
	v_add3_u32 v10, v10, v4, v0
	v_mov_b32_e32 v4, 0
	v_lshlrev_b64_e32 v[9:10], 3, v[9:10]
	s_delay_alu instid0(VALU_DEP_1) | instskip(SKIP_1) | instid1(VALU_DEP_2)
	v_add_co_u32 v0, s1, s8, v9
	s_wait_alu 0xf1ff
	v_add_co_ci_u32_e64 v11, s1, s9, v10, s1
	v_lshlrev_b64_e32 v[9:10], 3, v[3:4]
	s_delay_alu instid0(VALU_DEP_3) | instskip(SKIP_1) | instid1(VALU_DEP_3)
	v_add_co_u32 v0, s1, v0, v7
	s_wait_alu 0xf1ff
	v_add_co_ci_u32_e64 v4, s1, v11, v8, s1
	s_delay_alu instid0(VALU_DEP_2) | instskip(SKIP_1) | instid1(VALU_DEP_2)
	v_add_co_u32 v7, s1, v0, v9
	s_wait_alu 0xf1ff
	v_add_co_ci_u32_e64 v8, s1, v4, v10, s1
	s_clause 0x10
	global_load_b64 v[10:11], v[7:8], off
	global_load_b64 v[38:39], v[7:8], off offset:528
	global_load_b64 v[40:41], v[7:8], off offset:1056
	;; [unrolled: 1-line block ×16, first 2 shown]
.LBB0_11:
	s_wait_alu 0xfffe
	s_or_b32 exec_lo, exec_lo, s6
	s_wait_loadcnt 0x0
	v_dual_sub_f32 v4, v39, v13 :: v_dual_sub_f32 v7, v41, v15
	v_dual_add_f32 v46, v38, v12 :: v_dual_add_f32 v49, v40, v14
	v_dual_add_f32 v51, v42, v16 :: v_dual_sub_f32 v44, v37, v19
	s_delay_alu instid0(VALU_DEP_3) | instskip(SKIP_1) | instid1(VALU_DEP_3)
	v_dual_mul_f32 v64, 0xbf4c4adb, v4 :: v_dual_sub_f32 v9, v43, v17
	v_add_f32_e32 v52, v36, v18
	v_dual_sub_f32 v50, v23, v31 :: v_dual_mul_f32 v61, 0xbf06c442, v44
	s_delay_alu instid0(VALU_DEP_3) | instskip(SKIP_3) | instid1(VALU_DEP_4)
	v_fma_f32 v0, 0xbf1a4643, v46, -v64
	v_mul_f32_e32 v65, 0x3f763a35, v7
	v_dual_mul_f32 v60, 0xbeb8f4ab, v9 :: v_dual_sub_f32 v45, v35, v27
	v_add_f32_e32 v55, v22, v30
	v_add_f32_e32 v0, v10, v0
	s_delay_alu instid0(VALU_DEP_4) | instskip(NEXT) | instid1(VALU_DEP_4)
	v_fma_f32 v8, 0xbe8c1d8e, v49, -v65
	v_fma_f32 v48, 0x3f6eb680, v51, -v60
	v_dual_mul_f32 v62, 0x3f7ee86f, v45 :: v_dual_add_f32 v53, v34, v26
	s_delay_alu instid0(VALU_DEP_3) | instskip(SKIP_2) | instid1(VALU_DEP_4)
	v_dual_mul_f32 v59, 0xbe3c28d5, v50 :: v_dual_add_f32 v0, v0, v8
	v_sub_f32_e32 v47, v21, v29
	v_fma_f32 v8, 0xbf59a7d5, v52, -v61
	v_fma_f32 v56, 0x3dbcf732, v53, -v62
	s_delay_alu instid0(VALU_DEP_4) | instskip(SKIP_3) | instid1(VALU_DEP_3)
	v_fma_f32 v66, 0xbf7ba420, v55, -v59
	v_add_f32_e32 v0, v0, v48
	v_dual_add_f32 v54, v20, v28 :: v_dual_mul_f32 v63, 0xbf2c7751, v47
	v_sub_f32_e32 v48, v25, v33
	v_add_f32_e32 v0, v0, v8
	s_delay_alu instid0(VALU_DEP_3) | instskip(NEXT) | instid1(VALU_DEP_3)
	v_fma_f32 v8, 0x3f3d2fb0, v54, -v63
	v_mul_f32_e32 v58, 0x3f65296c, v48
	s_delay_alu instid0(VALU_DEP_3) | instskip(SKIP_1) | instid1(VALU_DEP_2)
	v_add_f32_e32 v0, v0, v56
	v_add_f32_e32 v56, v24, v32
	;; [unrolled: 1-line block ×3, first 2 shown]
	v_and_b32_e32 v8, 1, v57
	s_delay_alu instid0(VALU_DEP_3) | instskip(NEXT) | instid1(VALU_DEP_3)
	v_fma_f32 v57, 0x3ee437d1, v56, -v58
	v_add_f32_e32 v0, v0, v66
	s_delay_alu instid0(VALU_DEP_3) | instskip(NEXT) | instid1(VALU_DEP_2)
	v_cmp_eq_u32_e64 s1, 1, v8
	v_add_f32_e32 v8, v0, v57
	s_wait_alu 0xf1ff
	s_delay_alu instid0(VALU_DEP_2) | instskip(NEXT) | instid1(VALU_DEP_1)
	v_cndmask_b32_e64 v66, 0, 0x462, s1
	v_lshlrev_b32_e32 v0, 2, v66
	s_and_saveexec_b32 s1, s0
	s_cbranch_execz .LBB0_13
; %bb.12:
	v_dual_mul_f32 v57, 0xbf7ba420, v46 :: v_dual_mul_f32 v76, 0xbf7ba420, v55
	v_dual_mul_f32 v68, 0x3f6eb680, v51 :: v_dual_mul_f32 v69, 0x3f6eb680, v49
	;; [unrolled: 1-line block ×3, first 2 shown]
	s_delay_alu instid0(VALU_DEP_3) | instskip(SKIP_4) | instid1(VALU_DEP_4)
	v_fmamk_f32 v70, v4, 0x3e3c28d5, v57
	v_fmac_f32_e32 v57, 0xbe3c28d5, v4
	v_mul_f32_e32 v77, 0x3f3d2fb0, v52
	v_add_f32_e32 v60, v60, v68
	v_dual_add_f32 v64, v64, v66 :: v_dual_fmamk_f32 v81, v45, 0x3f4c4adb, v79
	v_add_f32_e32 v57, v10, v57
	v_dual_mul_f32 v67, 0xbe8c1d8e, v49 :: v_dual_add_f32 v70, v10, v70
	v_fmamk_f32 v74, v7, 0xbeb8f4ab, v69
	v_fmac_f32_e32 v69, 0x3eb8f4ab, v7
	v_fmac_f32_e32 v79, 0xbf4c4adb, v45
	s_delay_alu instid0(VALU_DEP_4) | instskip(SKIP_1) | instid1(VALU_DEP_4)
	v_add_f32_e32 v65, v65, v67
	v_dual_add_f32 v59, v59, v76 :: v_dual_mul_f32 v76, 0xbe8c1d8e, v54
	v_add_f32_e32 v57, v57, v69
	v_dual_mul_f32 v71, 0xbf59a7d5, v52 :: v_dual_add_f32 v70, v70, v74
	v_dual_mul_f32 v73, 0xbf59a7d5, v51 :: v_dual_mul_f32 v68, 0xbf59a7d5, v49
	v_mul_f32_e32 v84, 0x3dbcf732, v51
	s_delay_alu instid0(VALU_DEP_3) | instskip(NEXT) | instid1(VALU_DEP_3)
	v_dual_add_f32 v61, v61, v71 :: v_dual_add_f32 v64, v10, v64
	v_fmamk_f32 v78, v9, 0x3f06c442, v73
	s_delay_alu instid0(VALU_DEP_2) | instskip(NEXT) | instid1(VALU_DEP_2)
	v_add_f32_e32 v64, v64, v65
	v_dual_add_f32 v70, v70, v78 :: v_dual_fmac_f32 v73, 0xbf06c442, v9
	v_mul_f32_e32 v74, 0x3ee437d1, v56
	s_delay_alu instid0(VALU_DEP_2) | instskip(SKIP_2) | instid1(VALU_DEP_3)
	v_dual_add_f32 v60, v64, v60 :: v_dual_add_f32 v57, v57, v73
	v_fmamk_f32 v80, v44, 0xbf2c7751, v77
	v_mul_f32_e32 v75, 0x3f3d2fb0, v54
	v_dual_mul_f32 v73, 0x3dbcf732, v56 :: v_dual_add_f32 v60, v60, v61
	v_add_f32_e32 v58, v58, v74
	s_delay_alu instid0(VALU_DEP_4) | instskip(SKIP_1) | instid1(VALU_DEP_2)
	v_add_f32_e32 v70, v70, v80
	v_mul_f32_e32 v74, 0xbf1a4643, v49
	v_dual_add_f32 v69, v70, v81 :: v_dual_mul_f32 v70, 0xbf59a7d5, v46
	s_delay_alu instid0(VALU_DEP_1) | instskip(SKIP_1) | instid1(VALU_DEP_1)
	v_fmamk_f32 v83, v4, 0x3f06c442, v70
	v_fmac_f32_e32 v70, 0xbf06c442, v4
	v_dual_add_f32 v70, v10, v70 :: v_dual_fmac_f32 v77, 0x3f2c7751, v44
	s_delay_alu instid0(VALU_DEP_1) | instskip(SKIP_2) | instid1(VALU_DEP_3)
	v_add_f32_e32 v57, v57, v77
	v_fmamk_f32 v77, v48, 0xbf7ee86f, v73
	v_fmac_f32_e32 v73, 0x3f7ee86f, v48
	v_add_f32_e32 v57, v57, v79
	v_fmamk_f32 v79, v9, 0x3f7ee86f, v84
	v_fmac_f32_e32 v84, 0xbf7ee86f, v9
	v_mul_f32_e32 v80, 0xbe8c1d8e, v55
	s_delay_alu instid0(VALU_DEP_1) | instskip(SKIP_1) | instid1(VALU_DEP_1)
	v_fmamk_f32 v81, v50, 0x3f763a35, v80
	v_mul_f32_e32 v78, 0x3ee437d1, v54
	v_fmamk_f32 v82, v47, 0xbf65296c, v78
	s_delay_alu instid0(VALU_DEP_1) | instskip(NEXT) | instid1(VALU_DEP_1)
	v_dual_mul_f32 v72, 0x3dbcf732, v53 :: v_dual_add_f32 v69, v69, v82
	v_add_f32_e32 v61, v62, v72
	s_delay_alu instid0(VALU_DEP_2) | instskip(SKIP_1) | instid1(VALU_DEP_3)
	v_dual_mul_f32 v72, 0xbf1a4643, v56 :: v_dual_add_f32 v69, v69, v81
	v_dual_add_f32 v81, v10, v83 :: v_dual_mul_f32 v82, 0x3ee437d1, v49
	v_dual_add_f32 v60, v60, v61 :: v_dual_add_f32 v61, v63, v75
	s_delay_alu instid0(VALU_DEP_3) | instskip(SKIP_1) | instid1(VALU_DEP_3)
	v_add_f32_e32 v69, v69, v77
	v_mul_f32_e32 v71, 0x3f3d2fb0, v51
	v_dual_fmamk_f32 v83, v7, 0xbf65296c, v82 :: v_dual_add_f32 v60, v60, v61
	s_delay_alu instid0(VALU_DEP_1) | instskip(SKIP_1) | instid1(VALU_DEP_3)
	v_add_f32_e32 v77, v81, v83
	v_mul_f32_e32 v81, 0xbf1a4643, v52
	v_dual_fmac_f32 v80, 0xbf763a35, v50 :: v_dual_add_f32 v59, v60, v59
	s_delay_alu instid0(VALU_DEP_3) | instskip(SKIP_1) | instid1(VALU_DEP_3)
	v_add_f32_e32 v77, v77, v79
	v_fmac_f32_e32 v78, 0x3f65296c, v47
	v_dual_mul_f32 v79, 0x3f6eb680, v53 :: v_dual_add_f32 v58, v59, v58
	s_delay_alu instid0(VALU_DEP_2) | instskip(SKIP_2) | instid1(VALU_DEP_3)
	v_dual_add_f32 v57, v57, v78 :: v_dual_fmamk_f32 v78, v44, 0xbf4c4adb, v81
	v_fmac_f32_e32 v82, 0x3f65296c, v7
	v_fmac_f32_e32 v81, 0x3f4c4adb, v44
	v_add_f32_e32 v57, v57, v80
	s_delay_alu instid0(VALU_DEP_4) | instskip(SKIP_2) | instid1(VALU_DEP_4)
	v_add_f32_e32 v77, v77, v78
	v_fmamk_f32 v78, v45, 0x3eb8f4ab, v79
	v_mul_f32_e32 v80, 0xbf7ba420, v54
	v_dual_add_f32 v70, v70, v82 :: v_dual_add_f32 v57, v57, v73
	v_fmac_f32_e32 v79, 0xbeb8f4ab, v45
	s_delay_alu instid0(VALU_DEP_3) | instskip(SKIP_1) | instid1(VALU_DEP_4)
	v_dual_add_f32 v77, v77, v78 :: v_dual_fmamk_f32 v78, v47, 0x3e3c28d5, v80
	v_mul_f32_e32 v82, 0x3f3d2fb0, v55
	v_add_f32_e32 v70, v70, v84
	s_delay_alu instid0(VALU_DEP_3) | instskip(NEXT) | instid1(VALU_DEP_3)
	v_dual_fmac_f32 v80, 0xbe3c28d5, v47 :: v_dual_add_f32 v73, v77, v78
	v_fmamk_f32 v77, v50, 0xbf2c7751, v82
	v_mul_f32_e32 v78, 0xbe8c1d8e, v56
	s_delay_alu instid0(VALU_DEP_4) | instskip(SKIP_1) | instid1(VALU_DEP_3)
	v_add_f32_e32 v66, v70, v81
	v_fmac_f32_e32 v82, 0x3f2c7751, v50
	v_dual_add_f32 v70, v73, v77 :: v_dual_fmamk_f32 v73, v48, 0x3f763a35, v78
	s_delay_alu instid0(VALU_DEP_3) | instskip(NEXT) | instid1(VALU_DEP_2)
	v_add_f32_e32 v66, v66, v79
	v_dual_add_f32 v67, v70, v73 :: v_dual_mul_f32 v70, 0xbe8c1d8e, v46
	s_delay_alu instid0(VALU_DEP_1) | instskip(NEXT) | instid1(VALU_DEP_1)
	v_dual_add_f32 v65, v66, v80 :: v_dual_fmamk_f32 v66, v4, 0x3f763a35, v70
	v_add_f32_e32 v64, v65, v82
	s_delay_alu instid0(VALU_DEP_2) | instskip(SKIP_2) | instid1(VALU_DEP_3)
	v_dual_fmac_f32 v70, 0xbf763a35, v4 :: v_dual_add_f32 v65, v10, v66
	v_fmac_f32_e32 v78, 0xbf763a35, v48
	v_fmamk_f32 v66, v7, 0xbf06c442, v68
	v_add_f32_e32 v70, v10, v70
	s_delay_alu instid0(VALU_DEP_3) | instskip(NEXT) | instid1(VALU_DEP_3)
	v_dual_fmac_f32 v68, 0x3f06c442, v7 :: v_dual_add_f32 v63, v64, v78
	v_add_f32_e32 v62, v65, v66
	s_delay_alu instid0(VALU_DEP_2) | instskip(SKIP_2) | instid1(VALU_DEP_3)
	v_dual_fmamk_f32 v65, v9, 0xbf2c7751, v71 :: v_dual_add_f32 v68, v70, v68
	v_mul_f32_e32 v66, 0x3ee437d1, v52
	v_fmac_f32_e32 v71, 0x3f2c7751, v9
	v_add_f32_e32 v62, v62, v65
	s_delay_alu instid0(VALU_DEP_3) | instskip(NEXT) | instid1(VALU_DEP_3)
	v_fmamk_f32 v64, v44, 0x3f65296c, v66
	v_dual_add_f32 v68, v68, v71 :: v_dual_mul_f32 v71, 0xbf7ba420, v49
	s_delay_alu instid0(VALU_DEP_2) | instskip(SKIP_1) | instid1(VALU_DEP_1)
	v_dual_add_f32 v61, v62, v64 :: v_dual_mul_f32 v64, 0x3dbcf732, v54
	v_mul_f32_e32 v65, 0xbf7ba420, v53
	v_fmamk_f32 v62, v45, 0x3e3c28d5, v65
	s_delay_alu instid0(VALU_DEP_1) | instskip(SKIP_2) | instid1(VALU_DEP_3)
	v_dual_add_f32 v60, v61, v62 :: v_dual_fmamk_f32 v61, v47, 0xbf7ee86f, v64
	v_fmac_f32_e32 v64, 0x3f7ee86f, v47
	v_fmac_f32_e32 v65, 0xbe3c28d5, v45
	v_dual_add_f32 v60, v60, v61 :: v_dual_mul_f32 v61, 0x3dbcf732, v46
	s_delay_alu instid0(VALU_DEP_1) | instskip(SKIP_1) | instid1(VALU_DEP_2)
	v_fmamk_f32 v59, v4, 0x3f7ee86f, v61
	v_fmac_f32_e32 v61, 0xbf7ee86f, v4
	v_dual_add_f32 v59, v10, v59 :: v_dual_fmac_f32 v66, 0xbf65296c, v44
	s_delay_alu instid0(VALU_DEP_1) | instskip(SKIP_2) | instid1(VALU_DEP_3)
	v_dual_add_f32 v61, v10, v61 :: v_dual_add_f32 v66, v68, v66
	v_fmamk_f32 v68, v7, 0x3e3c28d5, v71
	v_fmac_f32_e32 v71, 0xbe3c28d5, v7
	v_add_f32_e32 v65, v66, v65
	v_fmamk_f32 v73, v48, 0x3f4c4adb, v72
	s_delay_alu instid0(VALU_DEP_3) | instskip(SKIP_4) | instid1(VALU_DEP_4)
	v_add_f32_e32 v61, v61, v71
	v_dual_mul_f32 v62, 0x3f6eb680, v55 :: v_dual_add_f32 v59, v59, v68
	v_mul_f32_e32 v68, 0x3f6eb680, v52
	v_add_f32_e32 v64, v65, v64
	v_mul_f32_e32 v71, 0x3f3d2fb0, v56
	v_fmamk_f32 v70, v50, 0x3eb8f4ab, v62
	v_fmac_f32_e32 v62, 0xbeb8f4ab, v50
	s_delay_alu instid0(VALU_DEP_2) | instskip(SKIP_1) | instid1(VALU_DEP_3)
	v_add_f32_e32 v60, v60, v70
	v_mul_f32_e32 v70, 0xbe8c1d8e, v51
	v_add_f32_e32 v62, v64, v62
	s_delay_alu instid0(VALU_DEP_3) | instskip(NEXT) | instid1(VALU_DEP_3)
	v_add_f32_e32 v60, v60, v73
	v_fmamk_f32 v66, v9, 0xbf763a35, v70
	v_mul_f32_e32 v73, 0xbf1a4643, v55
	v_fmac_f32_e32 v72, 0xbf4c4adb, v48
	v_fmamk_f32 v65, v44, 0xbeb8f4ab, v68
	s_delay_alu instid0(VALU_DEP_4) | instskip(NEXT) | instid1(VALU_DEP_3)
	v_dual_add_f32 v59, v59, v66 :: v_dual_mul_f32 v66, 0x3ee437d1, v53
	v_add_f32_e32 v62, v62, v72
	s_delay_alu instid0(VALU_DEP_2) | instskip(NEXT) | instid1(VALU_DEP_3)
	v_dual_mul_f32 v72, 0x3ee437d1, v46 :: v_dual_add_f32 v59, v59, v65
	v_fmamk_f32 v64, v45, 0x3f65296c, v66
	v_mul_f32_e32 v65, 0xbf59a7d5, v54
	s_delay_alu instid0(VALU_DEP_2) | instskip(NEXT) | instid1(VALU_DEP_2)
	v_add_f32_e32 v59, v59, v64
	v_fmamk_f32 v64, v47, 0x3f06c442, v65
	s_delay_alu instid0(VALU_DEP_1) | instskip(SKIP_2) | instid1(VALU_DEP_3)
	v_dual_add_f32 v59, v59, v64 :: v_dual_fmac_f32 v70, 0x3f763a35, v9
	v_fmamk_f32 v64, v50, 0xbf4c4adb, v73
	v_fmac_f32_e32 v73, 0x3f4c4adb, v50
	v_dual_add_f32 v61, v61, v70 :: v_dual_fmac_f32 v68, 0x3eb8f4ab, v44
	s_delay_alu instid0(VALU_DEP_3) | instskip(SKIP_2) | instid1(VALU_DEP_4)
	v_dual_add_f32 v59, v59, v64 :: v_dual_fmamk_f32 v64, v48, 0xbf2c7751, v71
	v_fmamk_f32 v70, v4, 0x3f65296c, v72
	v_fmac_f32_e32 v72, 0xbf65296c, v4
	v_dual_add_f32 v61, v61, v68 :: v_dual_fmamk_f32 v68, v7, 0x3f4c4adb, v74
	s_delay_alu instid0(VALU_DEP_4) | instskip(NEXT) | instid1(VALU_DEP_4)
	v_dual_add_f32 v59, v59, v64 :: v_dual_fmac_f32 v66, 0xbf65296c, v45
	v_dual_add_f32 v64, v10, v70 :: v_dual_fmac_f32 v65, 0xbf06c442, v47
	v_mul_f32_e32 v70, 0xbf7ba420, v51
	s_delay_alu instid0(VALU_DEP_3) | instskip(NEXT) | instid1(VALU_DEP_3)
	v_dual_fmac_f32 v74, 0xbf4c4adb, v7 :: v_dual_add_f32 v61, v61, v66
	v_add_f32_e32 v64, v64, v68
	v_mul_f32_e32 v68, 0xbe8c1d8e, v52
	s_delay_alu instid0(VALU_DEP_4) | instskip(SKIP_3) | instid1(VALU_DEP_4)
	v_fmamk_f32 v66, v9, 0xbe3c28d5, v70
	v_fmac_f32_e32 v70, 0x3e3c28d5, v9
	v_add_f32_e32 v61, v61, v65
	v_dual_add_f32 v65, v10, v72 :: v_dual_mul_f32 v72, 0x3f3d2fb0, v53
	v_dual_add_f32 v64, v64, v66 :: v_dual_fmac_f32 v71, 0x3f2c7751, v48
	s_delay_alu instid0(VALU_DEP_2) | instskip(NEXT) | instid1(VALU_DEP_4)
	v_dual_fmamk_f32 v66, v44, 0xbf763a35, v68 :: v_dual_add_f32 v65, v65, v74
	v_dual_add_f32 v61, v61, v73 :: v_dual_fmac_f32 v68, 0x3f763a35, v44
	v_mul_f32_e32 v74, 0x3f6eb680, v54
	s_delay_alu instid0(VALU_DEP_3) | instskip(NEXT) | instid1(VALU_DEP_4)
	v_add_f32_e32 v64, v64, v66
	v_add_f32_e32 v65, v65, v70
	s_delay_alu instid0(VALU_DEP_4)
	v_add_f32_e32 v61, v61, v71
	v_mul_f32_e32 v71, 0x3dbcf732, v49
	v_mul_f32_e32 v49, 0x3f3d2fb0, v49
	v_fmamk_f32 v66, v45, 0xbf2c7751, v72
	v_dual_add_f32 v65, v65, v68 :: v_dual_fmac_f32 v72, 0x3f2c7751, v45
	v_mul_f32_e32 v68, 0x3f3d2fb0, v46
	v_mul_f32_e32 v70, 0x3dbcf732, v55
	s_delay_alu instid0(VALU_DEP_4) | instskip(NEXT) | instid1(VALU_DEP_4)
	v_dual_add_f32 v64, v64, v66 :: v_dual_fmamk_f32 v73, v7, 0x3f7ee86f, v71
	v_dual_fmamk_f32 v66, v47, 0x3eb8f4ab, v74 :: v_dual_add_f32 v65, v65, v72
	v_fmac_f32_e32 v74, 0xbeb8f4ab, v47
	v_mul_f32_e32 v72, 0xbf59a7d5, v56
	s_delay_alu instid0(VALU_DEP_3) | instskip(NEXT) | instid1(VALU_DEP_3)
	v_dual_fmac_f32 v71, 0xbf7ee86f, v7 :: v_dual_add_f32 v64, v64, v66
	v_dual_fmamk_f32 v66, v50, 0x3f7ee86f, v70 :: v_dual_add_f32 v65, v65, v74
	v_fmac_f32_e32 v70, 0xbf7ee86f, v50
	s_delay_alu instid0(VALU_DEP_4)
	v_fmamk_f32 v75, v48, 0x3f06c442, v72
	v_fmac_f32_e32 v72, 0xbf06c442, v48
	v_mul_f32_e32 v74, 0xbf1a4643, v51
	v_mul_f32_e32 v51, 0x3ee437d1, v51
	v_add_f32_e32 v65, v65, v70
	v_mul_f32_e32 v46, 0x3f6eb680, v46
	s_delay_alu instid0(VALU_DEP_4) | instskip(NEXT) | instid1(VALU_DEP_3)
	v_fmamk_f32 v70, v9, 0x3f4c4adb, v74
	v_dual_fmac_f32 v74, 0xbf4c4adb, v9 :: v_dual_add_f32 v65, v65, v72
	v_mul_f32_e32 v72, 0xbf59a7d5, v53
	v_add_f32_e32 v64, v64, v66
	v_fmamk_f32 v66, v4, 0x3f2c7751, v68
	v_fmac_f32_e32 v68, 0xbf2c7751, v4
	s_delay_alu instid0(VALU_DEP_2) | instskip(NEXT) | instid1(VALU_DEP_2)
	v_add_f32_e32 v66, v10, v66
	v_add_f32_e32 v68, v10, v68
	s_delay_alu instid0(VALU_DEP_2) | instskip(NEXT) | instid1(VALU_DEP_2)
	v_dual_add_f32 v66, v66, v73 :: v_dual_mul_f32 v73, 0xbf7ba420, v52
	v_add_f32_e32 v68, v68, v71
	v_mul_f32_e32 v52, 0x3dbcf732, v52
	s_delay_alu instid0(VALU_DEP_3) | instskip(NEXT) | instid1(VALU_DEP_4)
	v_dual_fmamk_f32 v71, v45, 0xbf06c442, v72 :: v_dual_add_f32 v66, v66, v70
	v_fmamk_f32 v70, v44, 0x3e3c28d5, v73
	s_delay_alu instid0(VALU_DEP_4) | instskip(SKIP_2) | instid1(VALU_DEP_3)
	v_dual_add_f32 v68, v68, v74 :: v_dual_fmac_f32 v73, 0xbe3c28d5, v44
	v_fmac_f32_e32 v72, 0x3f06c442, v45
	v_mul_f32_e32 v74, 0x3ee437d1, v55
	v_dual_add_f32 v68, v68, v73 :: v_dual_mul_f32 v73, 0x3f6eb680, v56
	s_delay_alu instid0(VALU_DEP_1) | instskip(SKIP_4) | instid1(VALU_DEP_4)
	v_add_f32_e32 v68, v68, v72
	v_fmamk_f32 v72, v4, 0x3eb8f4ab, v46
	v_fmac_f32_e32 v46, 0xbeb8f4ab, v4
	v_fmamk_f32 v4, v7, 0x3f2c7751, v49
	v_fmac_f32_e32 v49, 0xbf2c7751, v7
	v_add_f32_e32 v7, v10, v72
	s_delay_alu instid0(VALU_DEP_4) | instskip(NEXT) | instid1(VALU_DEP_2)
	v_add_f32_e32 v46, v10, v46
	v_add_f32_e32 v4, v7, v4
	s_delay_alu instid0(VALU_DEP_2)
	v_add_f32_e32 v46, v46, v49
	v_dual_mul_f32 v49, 0xbe8c1d8e, v53 :: v_dual_add_f32 v66, v66, v70
	v_add_f32_e32 v70, v10, v38
	v_fmamk_f32 v10, v9, 0x3f65296c, v51
	v_fmac_f32_e32 v51, 0xbf65296c, v9
	v_fmamk_f32 v9, v44, 0x3f7ee86f, v52
	v_fmac_f32_e32 v52, 0xbf7ee86f, v44
	v_mul_f32_e32 v44, 0xbf1a4643, v54
	v_add_f32_e32 v4, v4, v10
	v_fmamk_f32 v10, v45, 0x3f763a35, v49
	v_dual_fmac_f32 v49, 0xbf763a35, v45 :: v_dual_add_f32 v66, v66, v71
	s_delay_alu instid0(VALU_DEP_3)
	v_dual_fmamk_f32 v71, v47, 0xbf763a35, v76 :: v_dual_add_f32 v4, v4, v9
	v_fmac_f32_e32 v76, 0x3f763a35, v47
	v_fmamk_f32 v9, v47, 0x3f4c4adb, v44
	v_fmac_f32_e32 v44, 0xbf4c4adb, v47
	v_mul_f32_e32 v47, 0xbf7ba420, v56
	v_add_f32_e32 v70, v70, v40
	v_add_f32_e32 v4, v4, v10
	;; [unrolled: 1-line block ×3, first 2 shown]
	v_dual_mul_f32 v45, 0xbf59a7d5, v55 :: v_dual_add_f32 v68, v68, v76
	s_delay_alu instid0(VALU_DEP_3) | instskip(SKIP_1) | instid1(VALU_DEP_4)
	v_add_f32_e32 v4, v4, v9
	v_dual_fmamk_f32 v9, v48, 0x3e3c28d5, v47 :: v_dual_add_f32 v70, v70, v42
	v_add_f32_e32 v46, v46, v52
	s_delay_alu instid0(VALU_DEP_4)
	v_fmamk_f32 v10, v50, 0x3f06c442, v45
	v_fmac_f32_e32 v45, 0xbf06c442, v50
	v_fmac_f32_e32 v47, 0xbe3c28d5, v48
	v_add_f32_e32 v70, v70, v36
	v_add_f32_e32 v46, v46, v49
	;; [unrolled: 1-line block ×3, first 2 shown]
	v_fmamk_f32 v71, v50, 0xbf65296c, v74
	v_fmac_f32_e32 v74, 0x3f65296c, v50
	v_add_f32_e32 v70, v70, v34
	v_add_f32_e32 v44, v46, v44
	v_add_f32_e32 v4, v4, v10
	v_dual_add_f32 v66, v66, v71 :: v_dual_fmamk_f32 v71, v48, 0xbeb8f4ab, v73
	s_delay_alu instid0(VALU_DEP_4) | instskip(NEXT) | instid1(VALU_DEP_4)
	v_add_f32_e32 v70, v70, v20
	v_add_f32_e32 v44, v44, v45
	v_mul_u32_u24_e32 v45, 0x44, v3
	v_dual_add_f32 v46, v68, v74 :: v_dual_fmac_f32 v73, 0x3eb8f4ab, v48
	s_delay_alu instid0(VALU_DEP_4) | instskip(NEXT) | instid1(VALU_DEP_4)
	v_add_f32_e32 v70, v70, v22
	v_add_f32_e32 v10, v44, v47
	s_delay_alu instid0(VALU_DEP_4) | instskip(SKIP_4) | instid1(VALU_DEP_2)
	v_add3_u32 v44, 0, v45, v0
	v_add_f32_e32 v47, v66, v71
	v_add_f32_e32 v45, v46, v73
	;; [unrolled: 1-line block ×4, first 2 shown]
	v_dual_add_f32 v4, v4, v9 :: v_dual_add_f32 v7, v70, v32
	s_delay_alu instid0(VALU_DEP_1) | instskip(NEXT) | instid1(VALU_DEP_1)
	v_add_f32_e32 v7, v30, v7
	v_add_f32_e32 v7, v28, v7
	s_delay_alu instid0(VALU_DEP_1) | instskip(NEXT) | instid1(VALU_DEP_1)
	v_add_f32_e32 v7, v26, v7
	v_add_f32_e32 v7, v18, v7
	;; [unrolled: 3-line block ×3, first 2 shown]
	s_delay_alu instid0(VALU_DEP_1)
	v_add_f32_e32 v7, v12, v7
	ds_store_2addr_b32 v44, v7, v10 offset1:1
	ds_store_2addr_b32 v44, v45, v65 offset0:2 offset1:3
	ds_store_2addr_b32 v44, v61, v62 offset0:4 offset1:5
	;; [unrolled: 1-line block ×7, first 2 shown]
	ds_store_b32 v44, v4 offset:64
.LBB0_13:
	s_wait_alu 0xfffe
	s_or_b32 exec_lo, exec_lo, s1
	v_dual_sub_f32 v67, v38, v12 :: v_dual_add_f32 v62, v41, v15
	v_add_f32_e32 v65, v39, v13
	v_dual_sub_f32 v63, v40, v14 :: v_dual_sub_f32 v60, v42, v16
	s_delay_alu instid0(VALU_DEP_3) | instskip(SKIP_1) | instid1(VALU_DEP_3)
	v_dual_mul_f32 v66, 0xbf4c4adb, v67 :: v_dual_sub_f32 v57, v36, v18
	v_dual_add_f32 v59, v43, v17 :: v_dual_add_f32 v56, v37, v19
	v_mul_f32_e32 v64, 0x3f763a35, v63
	s_delay_alu instid0(VALU_DEP_3) | instskip(SKIP_2) | instid1(VALU_DEP_3)
	v_fmamk_f32 v4, v65, 0xbf1a4643, v66
	v_dual_add_f32 v42, v35, v27 :: v_dual_mul_f32 v61, 0xbeb8f4ab, v60
	v_sub_f32_e32 v54, v34, v26
	v_dual_fmamk_f32 v7, v62, 0xbe8c1d8e, v64 :: v_dual_add_f32 v4, v11, v4
	v_mul_f32_e32 v58, 0xbf06c442, v57
	s_delay_alu instid0(VALU_DEP_4) | instskip(NEXT) | instid1(VALU_DEP_3)
	v_dual_fmamk_f32 v9, v59, 0x3f6eb680, v61 :: v_dual_add_f32 v36, v21, v29
	v_dual_mul_f32 v55, 0x3f7ee86f, v54 :: v_dual_add_f32 v4, v4, v7
	s_delay_alu instid0(VALU_DEP_3) | instskip(SKIP_1) | instid1(VALU_DEP_3)
	v_dual_add_f32 v26, v23, v31 :: v_dual_fmamk_f32 v7, v56, 0xbf59a7d5, v58
	v_sub_f32_e32 v38, v20, v28
	v_fmamk_f32 v10, v42, 0x3dbcf732, v55
	s_delay_alu instid0(VALU_DEP_4)
	v_dual_add_f32 v4, v4, v9 :: v_dual_lshlrev_b32 v9, 2, v3
	global_wb scope:SCOPE_SE
	s_wait_dscnt 0x0
	v_mul_f32_e32 v40, 0xbf2c7751, v38
	s_barrier_signal -1
	v_add_f32_e32 v4, v4, v7
	v_add_nc_u32_e32 v20, 0, v9
	v_add3_u32 v28, 0, v0, v9
	s_barrier_wait -1
	global_inv scope:SCOPE_SE
	v_add_f32_e32 v10, v4, v10
	v_add_nc_u32_e32 v4, v20, v0
	v_sub_f32_e32 v30, v22, v30
	ds_load_b32 v7, v28
	v_sub_f32_e32 v18, v24, v32
	v_fmamk_f32 v22, v36, 0x3f3d2fb0, v40
	v_add_nc_u32_e32 v9, 0xa00, v4
	v_add_nc_u32_e32 v16, 0x400, v4
	;; [unrolled: 1-line block ×4, first 2 shown]
	ds_load_2addr_b32 v[52:53], v4 offset0:102 offset1:204
	ds_load_2addr_b32 v[50:51], v16 offset0:50 offset1:152
	;; [unrolled: 1-line block ×5, first 2 shown]
	v_mul_f32_e32 v34, 0xbe3c28d5, v30
	v_add_f32_e32 v10, v10, v22
	v_add_f32_e32 v22, v25, v33
	v_mul_f32_e32 v24, 0x3f65296c, v18
	s_add_nc_u64 s[2:3], s[14:15], s[2:3]
	v_fmamk_f32 v32, v26, 0xbf7ba420, v34
	global_wb scope:SCOPE_SE
	s_wait_dscnt 0x0
	s_barrier_signal -1
	s_barrier_wait -1
	global_inv scope:SCOPE_SE
	v_add_f32_e32 v10, v10, v32
	v_fmamk_f32 v32, v22, 0x3ee437d1, v24
	s_delay_alu instid0(VALU_DEP_1)
	v_add_f32_e32 v10, v10, v32
	s_and_saveexec_b32 s1, s0
	s_cbranch_execz .LBB0_15
; %bb.14:
	v_dual_add_f32 v32, v11, v39 :: v_dual_mul_f32 v39, 0xbf1a4643, v65
	v_mul_f32_e32 v68, 0xbe8c1d8e, v62
	v_mul_f32_e32 v75, 0xbf65296c, v67
	s_delay_alu instid0(VALU_DEP_3) | instskip(NEXT) | instid1(VALU_DEP_4)
	v_dual_mul_f32 v78, 0xbf2c7751, v63 :: v_dual_add_f32 v41, v32, v41
	v_dual_sub_f32 v39, v39, v66 :: v_dual_mul_f32 v70, 0xbf59a7d5, v56
	v_mul_f32_e32 v77, 0xbf06c442, v67
	v_mul_f32_e32 v81, 0x3f06c442, v63
	s_delay_alu instid0(VALU_DEP_4) | instskip(SKIP_1) | instid1(VALU_DEP_4)
	v_dual_add_f32 v41, v41, v43 :: v_dual_mul_f32 v72, 0x3f3d2fb0, v36
	v_mul_f32_e32 v43, 0xbeb8f4ab, v67
	v_fma_f32 v66, 0xbf59a7d5, v65, -v77
	v_mul_f32_e32 v79, 0xbf4c4adb, v63
	s_delay_alu instid0(VALU_DEP_4) | instskip(SKIP_2) | instid1(VALU_DEP_4)
	v_dual_add_f32 v37, v41, v37 :: v_dual_mul_f32 v32, 0x3ee437d1, v22
	v_fmac_f32_e32 v77, 0xbf59a7d5, v65
	v_mul_f32_e32 v69, 0x3f6eb680, v59
	v_fma_f32 v84, 0xbf1a4643, v62, -v79
	s_delay_alu instid0(VALU_DEP_4)
	v_add_f32_e32 v35, v37, v35
	v_mul_f32_e32 v74, 0xbf2c7751, v67
	v_mul_f32_e32 v37, 0xbf7ee86f, v63
	v_fmac_f32_e32 v79, 0xbf1a4643, v62
	v_add_f32_e32 v39, v11, v39
	v_add_f32_e32 v21, v35, v21
	v_fma_f32 v82, 0x3f3d2fb0, v65, -v74
	v_fmac_f32_e32 v74, 0x3f3d2fb0, v65
	v_fma_f32 v35, 0x3f6eb680, v65, -v43
	v_fmac_f32_e32 v43, 0x3f6eb680, v65
	v_add_f32_e32 v21, v21, v23
	v_mul_f32_e32 v76, 0xbf7ee86f, v67
	v_fma_f32 v23, 0x3ee437d1, v65, -v75
	v_fmac_f32_e32 v75, 0x3ee437d1, v65
	v_mul_f32_e32 v73, 0xbf7ba420, v26
	v_dual_add_f32 v21, v21, v25 :: v_dual_mul_f32 v80, 0xbe3c28d5, v63
	v_mul_f32_e32 v71, 0x3dbcf732, v42
	v_fma_f32 v83, 0x3dbcf732, v65, -v76
	v_fmac_f32_e32 v76, 0x3dbcf732, v65
	s_delay_alu instid0(VALU_DEP_4) | instskip(SKIP_1) | instid1(VALU_DEP_2)
	v_add_f32_e32 v21, v21, v33
	v_dual_add_f32 v23, v11, v23 :: v_dual_sub_f32 v24, v32, v24
	v_add_f32_e32 v21, v31, v21
	v_fma_f32 v31, 0x3dbcf732, v62, -v37
	v_fmac_f32_e32 v37, 0x3dbcf732, v62
	s_delay_alu instid0(VALU_DEP_4) | instskip(NEXT) | instid1(VALU_DEP_4)
	v_add_f32_e32 v23, v23, v84
	v_add_f32_e32 v21, v29, v21
	;; [unrolled: 1-line block ×5, first 2 shown]
	s_delay_alu instid0(VALU_DEP_4) | instskip(SKIP_3) | instid1(VALU_DEP_4)
	v_add_f32_e32 v21, v27, v21
	v_add_f32_e32 v27, v11, v74
	;; [unrolled: 1-line block ×3, first 2 shown]
	v_dual_mul_f32 v41, 0xbf763a35, v67 :: v_dual_sub_f32 v34, v73, v34
	v_add_f32_e32 v19, v19, v21
	v_mul_f32_e32 v67, 0xbe3c28d5, v67
	v_add_f32_e32 v31, v43, v31
	s_delay_alu instid0(VALU_DEP_4)
	v_fma_f32 v25, 0xbe8c1d8e, v65, -v41
	v_add_f32_e32 v27, v27, v37
	v_add_f32_e32 v17, v17, v19
	v_fma_f32 v37, 0xbf59a7d5, v62, -v81
	v_mul_f32_e32 v43, 0x3f65296c, v63
	v_add_f32_e32 v25, v11, v25
	v_fmac_f32_e32 v41, 0xbe8c1d8e, v65
	v_fma_f32 v33, 0xbf7ba420, v65, -v67
	v_fmac_f32_e32 v67, 0xbf7ba420, v65
	v_add_f32_e32 v19, v11, v66
	v_add_f32_e32 v15, v15, v17
	;; [unrolled: 1-line block ×3, first 2 shown]
	v_sub_f32_e32 v37, v68, v64
	v_fma_f32 v64, 0x3ee437d1, v62, -v43
	v_mul_f32_e32 v63, 0x3eb8f4ab, v63
	v_fma_f32 v65, 0x3f3d2fb0, v62, -v78
	v_dual_fmac_f32 v78, 0x3f3d2fb0, v62 :: v_dual_add_f32 v75, v11, v83
	v_add_f32_e32 v21, v11, v76
	v_add_f32_e32 v41, v11, v41
	;; [unrolled: 1-line block ×5, first 2 shown]
	v_fma_f32 v15, 0xbf7ba420, v62, -v80
	v_dual_fmac_f32 v80, 0xbf7ba420, v62 :: v_dual_add_f32 v11, v11, v67
	v_fmac_f32_e32 v81, 0xbf59a7d5, v62
	v_fmac_f32_e32 v43, 0x3ee437d1, v62
	v_add_f32_e32 v19, v19, v64
	v_fma_f32 v64, 0x3f6eb680, v62, -v63
	v_fmac_f32_e32 v63, 0x3f6eb680, v62
	v_dual_mul_f32 v62, 0xbf4c4adb, v60 :: v_dual_add_f32 v37, v39, v37
	v_mul_f32_e32 v39, 0xbf65296c, v60
	v_add_f32_e32 v21, v21, v80
	s_delay_alu instid0(VALU_DEP_4) | instskip(NEXT) | instid1(VALU_DEP_4)
	v_add_f32_e32 v11, v11, v63
	v_fma_f32 v63, 0xbf1a4643, v59, -v62
	v_dual_fmac_f32 v62, 0xbf1a4643, v59 :: v_dual_add_f32 v33, v33, v64
	v_dual_mul_f32 v64, 0x3e3c28d5, v60 :: v_dual_add_f32 v41, v41, v81
	s_delay_alu instid0(VALU_DEP_3) | instskip(NEXT) | instid1(VALU_DEP_3)
	v_add_f32_e32 v31, v31, v63
	v_dual_add_f32 v27, v27, v62 :: v_dual_mul_f32 v62, 0x3f2c7751, v60
	v_add_f32_e32 v17, v29, v65
	v_add_f32_e32 v29, v35, v78
	v_fma_f32 v65, 0x3ee437d1, v59, -v39
	v_fmac_f32_e32 v39, 0x3ee437d1, v59
	v_add_f32_e32 v35, v74, v79
	v_fma_f32 v63, 0xbf7ba420, v59, -v64
	s_delay_alu instid0(VALU_DEP_4) | instskip(NEXT) | instid1(VALU_DEP_4)
	v_dual_fmac_f32 v64, 0xbf7ba420, v59 :: v_dual_add_f32 v17, v17, v65
	v_add_f32_e32 v29, v29, v39
	v_mul_f32_e32 v39, 0x3f763a35, v60
	s_delay_alu instid0(VALU_DEP_4) | instskip(NEXT) | instid1(VALU_DEP_4)
	v_add_f32_e32 v23, v23, v63
	v_add_f32_e32 v35, v35, v64
	v_fma_f32 v63, 0x3f3d2fb0, v59, -v62
	v_mul_f32_e32 v64, 0xbf7ee86f, v60
	v_fma_f32 v65, 0xbe8c1d8e, v59, -v39
	v_fmac_f32_e32 v39, 0xbe8c1d8e, v59
	v_fmac_f32_e32 v62, 0x3f3d2fb0, v59
	v_dual_mul_f32 v60, 0xbf06c442, v60 :: v_dual_add_f32 v25, v25, v63
	s_delay_alu instid0(VALU_DEP_3) | instskip(SKIP_3) | instid1(VALU_DEP_3)
	v_add_f32_e32 v21, v21, v39
	v_sub_f32_e32 v39, v69, v61
	v_fma_f32 v61, 0x3dbcf732, v59, -v64
	v_dual_add_f32 v41, v41, v62 :: v_dual_fmac_f32 v64, 0x3dbcf732, v59
	v_add_f32_e32 v37, v37, v39
	v_mul_f32_e32 v39, 0xbf7ee86f, v57
	s_delay_alu instid0(VALU_DEP_4)
	v_add_f32_e32 v19, v19, v61
	v_fma_f32 v61, 0xbf59a7d5, v59, -v60
	v_fmac_f32_e32 v60, 0xbf59a7d5, v59
	v_mul_f32_e32 v59, 0xbe3c28d5, v57
	v_fma_f32 v62, 0x3dbcf732, v56, -v39
	v_fmac_f32_e32 v39, 0x3dbcf732, v56
	v_add_f32_e32 v33, v33, v61
	v_add_f32_e32 v11, v11, v60
	v_fma_f32 v60, 0xbf7ba420, v56, -v59
	v_add_f32_e32 v17, v17, v62
	v_add_f32_e32 v29, v29, v39
	v_mul_f32_e32 v39, 0x3eb8f4ab, v57
	v_mul_f32_e32 v61, 0x3f763a35, v57
	v_fmac_f32_e32 v59, 0xbf7ba420, v56
	v_add_f32_e32 v31, v31, v60
	s_delay_alu instid0(VALU_DEP_4)
	v_fma_f32 v62, 0x3f6eb680, v56, -v39
	v_fmac_f32_e32 v39, 0x3f6eb680, v56
	v_fma_f32 v60, 0xbe8c1d8e, v56, -v61
	v_fmac_f32_e32 v61, 0xbe8c1d8e, v56
	v_add_f32_e32 v27, v27, v59
	v_mul_f32_e32 v59, 0xbf65296c, v57
	v_add_f32_e32 v21, v21, v39
	v_sub_f32_e32 v39, v70, v58
	v_add_f32_e32 v23, v23, v60
	v_add_f32_e32 v35, v35, v61
	v_fma_f32 v60, 0x3ee437d1, v56, -v59
	v_mul_f32_e32 v61, 0x3f4c4adb, v57
	v_fmac_f32_e32 v59, 0x3ee437d1, v56
	v_add_f32_e32 v37, v37, v39
	v_mul_f32_e32 v39, 0xbf763a35, v54
	v_mul_f32_e32 v57, 0x3f2c7751, v57
	v_fma_f32 v58, 0xbf1a4643, v56, -v61
	v_add_f32_e32 v41, v41, v59
	v_fmac_f32_e32 v61, 0xbf1a4643, v56
	v_fma_f32 v59, 0xbe8c1d8e, v42, -v39
	v_fmac_f32_e32 v39, 0xbe8c1d8e, v42
	v_add_f32_e32 v19, v19, v58
	v_fma_f32 v58, 0x3f3d2fb0, v56, -v57
	v_fmac_f32_e32 v57, 0x3f3d2fb0, v56
	s_delay_alu instid0(VALU_DEP_4) | instskip(SKIP_1) | instid1(VALU_DEP_4)
	v_dual_mul_f32 v56, 0x3f06c442, v54 :: v_dual_add_f32 v29, v29, v39
	v_mul_f32_e32 v39, 0xbf65296c, v54
	v_add_f32_e32 v33, v33, v58
	s_delay_alu instid0(VALU_DEP_4) | instskip(NEXT) | instid1(VALU_DEP_4)
	v_add_f32_e32 v11, v11, v57
	v_fma_f32 v57, 0xbf59a7d5, v42, -v56
	v_dual_add_f32 v17, v17, v59 :: v_dual_mul_f32 v58, 0x3f2c7751, v54
	v_fmac_f32_e32 v56, 0xbf59a7d5, v42
	v_fma_f32 v59, 0x3ee437d1, v42, -v39
	v_fmac_f32_e32 v39, 0x3ee437d1, v42
	v_add_f32_e32 v31, v31, v57
	v_fma_f32 v57, 0x3f3d2fb0, v42, -v58
	v_dual_add_f32 v27, v27, v56 :: v_dual_mul_f32 v56, 0xbe3c28d5, v54
	s_delay_alu instid0(VALU_DEP_4) | instskip(SKIP_1) | instid1(VALU_DEP_4)
	v_add_f32_e32 v21, v21, v39
	v_sub_f32_e32 v39, v71, v55
	v_dual_add_f32 v23, v23, v57 :: v_dual_fmac_f32 v58, 0x3f3d2fb0, v42
	s_delay_alu instid0(VALU_DEP_4) | instskip(NEXT) | instid1(VALU_DEP_3)
	v_fma_f32 v57, 0xbf7ba420, v42, -v56
	v_dual_fmac_f32 v56, 0xbf7ba420, v42 :: v_dual_add_f32 v37, v37, v39
	v_mul_f32_e32 v39, 0xbf4c4adb, v38
	s_delay_alu instid0(VALU_DEP_4) | instskip(NEXT) | instid1(VALU_DEP_3)
	v_add_f32_e32 v35, v35, v58
	v_dual_mul_f32 v58, 0xbeb8f4ab, v54 :: v_dual_add_f32 v41, v41, v56
	v_mul_f32_e32 v54, 0xbf4c4adb, v54
	s_delay_alu instid0(VALU_DEP_4) | instskip(SKIP_1) | instid1(VALU_DEP_4)
	v_fma_f32 v56, 0xbf1a4643, v36, -v39
	v_fmac_f32_e32 v39, 0xbf1a4643, v36
	v_fma_f32 v55, 0x3f6eb680, v42, -v58
	v_dual_fmac_f32 v58, 0x3f6eb680, v42 :: v_dual_add_f32 v25, v25, v60
	s_delay_alu instid0(VALU_DEP_4) | instskip(NEXT) | instid1(VALU_DEP_4)
	v_add_f32_e32 v17, v17, v56
	v_add_f32_e32 v29, v29, v39
	v_mul_f32_e32 v39, 0xbf06c442, v38
	v_add_f32_e32 v19, v19, v55
	v_fma_f32 v55, 0xbf1a4643, v42, -v54
	v_fmac_f32_e32 v54, 0xbf1a4643, v42
	v_mul_f32_e32 v42, 0x3f763a35, v38
	v_fma_f32 v56, 0xbf59a7d5, v36, -v39
	v_fmac_f32_e32 v39, 0xbf59a7d5, v36
	v_add_f32_e32 v33, v33, v55
	v_add_f32_e32 v11, v11, v54
	v_fma_f32 v54, 0xbe8c1d8e, v36, -v42
	v_mul_f32_e32 v55, 0xbeb8f4ab, v38
	v_add_f32_e32 v21, v21, v39
	v_sub_f32_e32 v39, v72, v40
	s_delay_alu instid0(VALU_DEP_4) | instskip(NEXT) | instid1(VALU_DEP_4)
	v_dual_fmac_f32 v42, 0xbe8c1d8e, v36 :: v_dual_add_f32 v31, v31, v54
	v_fma_f32 v54, 0x3f6eb680, v36, -v55
	v_fmac_f32_e32 v55, 0x3f6eb680, v36
	s_delay_alu instid0(VALU_DEP_4) | instskip(NEXT) | instid1(VALU_DEP_4)
	v_add_f32_e32 v37, v37, v39
	v_add_f32_e32 v27, v27, v42
	v_mul_f32_e32 v42, 0x3f7ee86f, v38
	v_add_f32_e32 v23, v23, v54
	s_delay_alu instid0(VALU_DEP_4) | instskip(SKIP_1) | instid1(VALU_DEP_4)
	v_dual_add_f32 v35, v35, v55 :: v_dual_add_f32 v34, v37, v34
	v_mul_f32_e32 v55, 0xbe3c28d5, v38
	v_fma_f32 v54, 0x3dbcf732, v36, -v42
	v_fmac_f32_e32 v42, 0x3dbcf732, v36
	v_mul_f32_e32 v38, 0x3f65296c, v38
	v_add_f32_e32 v24, v34, v24
	v_lshlrev_b32_e32 v34, 6, v3
	s_delay_alu instid0(VALU_DEP_4) | instskip(SKIP_3) | instid1(VALU_DEP_4)
	v_dual_add_f32 v43, v66, v43 :: v_dual_add_f32 v40, v41, v42
	v_fma_f32 v41, 0xbf7ba420, v36, -v55
	v_fmac_f32_e32 v55, 0xbf7ba420, v36
	v_mul_f32_e32 v39, 0xbf06c442, v30
	v_add_f32_e32 v43, v43, v64
	v_add_f32_e32 v25, v25, v57
	;; [unrolled: 1-line block ×3, first 2 shown]
	v_fma_f32 v41, 0x3ee437d1, v36, -v38
	s_delay_alu instid0(VALU_DEP_4) | instskip(SKIP_3) | instid1(VALU_DEP_4)
	v_dual_fmac_f32 v38, 0x3ee437d1, v36 :: v_dual_add_f32 v43, v43, v61
	v_fma_f32 v36, 0xbf59a7d5, v26, -v39
	v_add_f32_e32 v25, v25, v54
	v_fmac_f32_e32 v39, 0xbf59a7d5, v26
	v_add_f32_e32 v11, v11, v38
	v_add_f32_e32 v43, v43, v58
	v_dual_add_f32 v17, v17, v36 :: v_dual_mul_f32 v38, 0xbf7ee86f, v30
	s_delay_alu instid0(VALU_DEP_4) | instskip(NEXT) | instid1(VALU_DEP_3)
	v_add_f32_e32 v29, v29, v39
	v_dual_mul_f32 v39, 0x3f4c4adb, v30 :: v_dual_add_f32 v42, v43, v55
	v_mul_f32_e32 v43, 0x3f65296c, v30
	v_add_f32_e32 v33, v33, v41
	v_add3_u32 v20, v20, v34, v0
	s_delay_alu instid0(VALU_DEP_4) | instskip(SKIP_3) | instid1(VALU_DEP_3)
	v_fma_f32 v41, 0xbf1a4643, v26, -v39
	v_fmac_f32_e32 v39, 0xbf1a4643, v26
	v_fma_f32 v36, 0x3ee437d1, v26, -v43
	v_fmac_f32_e32 v43, 0x3ee437d1, v26
	v_add_f32_e32 v21, v21, v39
	s_delay_alu instid0(VALU_DEP_3) | instskip(SKIP_1) | instid1(VALU_DEP_4)
	v_add_f32_e32 v31, v31, v36
	v_fma_f32 v36, 0x3dbcf732, v26, -v38
	v_dual_fmac_f32 v38, 0x3dbcf732, v26 :: v_dual_add_f32 v27, v27, v43
	v_mul_f32_e32 v43, 0xbeb8f4ab, v30
	s_delay_alu instid0(VALU_DEP_3) | instskip(NEXT) | instid1(VALU_DEP_3)
	v_add_f32_e32 v23, v23, v36
	v_add_f32_e32 v35, v35, v38
	v_mul_f32_e32 v38, 0x3f2c7751, v30
	s_delay_alu instid0(VALU_DEP_4) | instskip(SKIP_2) | instid1(VALU_DEP_3)
	v_fma_f32 v36, 0x3f6eb680, v26, -v43
	v_mul_f32_e32 v30, 0xbf763a35, v30
	v_fmac_f32_e32 v43, 0x3f6eb680, v26
	v_add_f32_e32 v25, v25, v36
	v_fma_f32 v36, 0x3f3d2fb0, v26, -v38
	v_dual_fmac_f32 v38, 0x3f3d2fb0, v26 :: v_dual_add_f32 v15, v75, v15
	v_fma_f32 v37, 0xbe8c1d8e, v26, -v30
	s_delay_alu instid0(VALU_DEP_3) | instskip(NEXT) | instid1(VALU_DEP_3)
	v_dual_fmac_f32 v30, 0xbe8c1d8e, v26 :: v_dual_add_f32 v19, v19, v36
	v_add_f32_e32 v26, v42, v38
	s_delay_alu instid0(VALU_DEP_4) | instskip(SKIP_1) | instid1(VALU_DEP_4)
	v_dual_mul_f32 v38, 0x3eb8f4ab, v18 :: v_dual_add_f32 v15, v15, v65
	v_mul_f32_e32 v36, 0xbe3c28d5, v18
	v_add_f32_e32 v11, v11, v30
	v_add_f32_e32 v39, v40, v43
	s_delay_alu instid0(VALU_DEP_4)
	v_fma_f32 v30, 0x3f6eb680, v22, -v38
	v_add_f32_e32 v15, v15, v62
	v_fma_f32 v40, 0xbf7ba420, v22, -v36
	v_dual_add_f32 v33, v33, v37 :: v_dual_fmac_f32 v36, 0xbf7ba420, v22
	v_mul_f32_e32 v37, 0xbf06c442, v18
	v_fmac_f32_e32 v38, 0x3f6eb680, v22
	v_add_f32_e32 v30, v31, v30
	v_mul_f32_e32 v31, 0x3f2c7751, v18
	v_add_f32_e32 v15, v15, v59
	v_add_f32_e32 v17, v17, v40
	;; [unrolled: 1-line block ×3, first 2 shown]
	v_fma_f32 v36, 0xbf59a7d5, v22, -v37
	v_add_f32_e32 v27, v27, v38
	v_mul_f32_e32 v38, 0xbf4c4adb, v18
	v_fma_f32 v40, 0x3f3d2fb0, v22, -v31
	v_fmac_f32_e32 v31, 0x3f3d2fb0, v22
	v_add_f32_e32 v15, v15, v56
	v_add_f32_e32 v23, v23, v36
	v_fma_f32 v36, 0xbf1a4643, v22, -v38
	v_fmac_f32_e32 v37, 0xbf59a7d5, v22
	v_add_f32_e32 v21, v21, v31
	v_mul_f32_e32 v31, 0xbf763a35, v18
	v_dual_mul_f32 v18, 0x3f7ee86f, v18 :: v_dual_add_f32 v15, v15, v41
	v_add_f32_e32 v25, v25, v36
	v_add_f32_e32 v35, v35, v37
	s_delay_alu instid0(VALU_DEP_4) | instskip(SKIP_4) | instid1(VALU_DEP_4)
	v_fma_f32 v36, 0xbe8c1d8e, v22, -v31
	v_fmac_f32_e32 v31, 0xbe8c1d8e, v22
	v_fma_f32 v37, 0x3dbcf732, v22, -v18
	v_fmac_f32_e32 v18, 0x3dbcf732, v22
	v_dual_fmac_f32 v38, 0xbf1a4643, v22 :: v_dual_add_f32 v15, v15, v40
	v_dual_add_f32 v19, v19, v36 :: v_dual_add_f32 v22, v26, v31
	s_delay_alu instid0(VALU_DEP_3) | instskip(NEXT) | instid1(VALU_DEP_3)
	v_dual_add_f32 v26, v33, v37 :: v_dual_add_f32 v11, v11, v18
	v_add_f32_e32 v32, v39, v38
	ds_store_2addr_b32 v20, v13, v17 offset1:1
	ds_store_2addr_b32 v20, v30, v23 offset0:2 offset1:3
	ds_store_2addr_b32 v20, v15, v25 offset0:4 offset1:5
	;; [unrolled: 1-line block ×7, first 2 shown]
	ds_store_b32 v20, v29 offset:64
.LBB0_15:
	s_wait_alu 0xfffe
	s_or_b32 exec_lo, exec_lo, s1
	v_and_b32_e32 v11, 0xff, v3
	s_load_b64 s[2:3], s[2:3], 0x0
	global_wb scope:SCOPE_SE
	s_wait_dscnt 0x0
	s_wait_kmcnt 0x0
	s_barrier_signal -1
	s_barrier_wait -1
	v_mul_lo_u16 v11, 0xf1, v11
	global_inv scope:SCOPE_SE
	v_cmp_gt_u32_e64 s0, 0x55, v3
	v_lshrrev_b16 v11, 12, v11
	s_delay_alu instid0(VALU_DEP_1) | instskip(NEXT) | instid1(VALU_DEP_1)
	v_mul_lo_u16 v13, v11, 17
	v_sub_nc_u16 v13, v3, v13
	s_delay_alu instid0(VALU_DEP_1) | instskip(NEXT) | instid1(VALU_DEP_1)
	v_and_b32_e32 v13, 0xff, v13
	v_mul_u32_u24_e32 v15, 10, v13
	s_delay_alu instid0(VALU_DEP_1)
	v_lshlrev_b32_e32 v15, 3, v15
	s_clause 0x4
	global_load_b128 v[18:21], v15, s[4:5]
	global_load_b128 v[34:37], v15, s[4:5] offset:16
	global_load_b128 v[54:57], v15, s[4:5] offset:32
	;; [unrolled: 1-line block ×4, first 2 shown]
	ds_load_2addr_b32 v[26:27], v4 offset0:102 offset1:204
	ds_load_2addr_b32 v[15:16], v16 offset0:50 offset1:152
	v_and_b32_e32 v17, 0xffff, v11
	ds_load_b32 v31, v28
	ds_load_2addr_b32 v[11:12], v12 offset0:126 offset1:228
	s_wait_loadcnt_dscnt 0x403
	v_mul_f32_e32 v38, v27, v21
	s_wait_loadcnt 0x3
	v_mul_f32_e32 v30, v51, v37
	s_wait_dscnt 0x2
	v_mul_f32_e32 v32, v15, v35
	v_dual_mul_f32 v41, v26, v19 :: v_dual_lshlrev_b32 v22, 2, v13
	ds_load_2addr_b32 v[66:67], v9 offset0:74 offset1:176
	ds_load_2addr_b32 v[13:14], v14 offset0:150 offset1:252
	v_mad_u32_u24 v17, 0x2ec, v17, 0
	v_add_nc_u32_e32 v23, 0x200, v4
	v_add_nc_u32_e32 v25, 0x800, v4
	v_dual_mul_f32 v21, v53, v21 :: v_dual_fmac_f32 v32, v50, v34
	s_delay_alu instid0(VALU_DEP_4) | instskip(SKIP_3) | instid1(VALU_DEP_3)
	v_add3_u32 v0, v17, v22, v0
	v_mul_f32_e32 v22, v16, v37
	v_dual_mul_f32 v17, v52, v19 :: v_dual_fmac_f32 v38, v53, v20
	v_mul_f32_e32 v29, v50, v35
	v_dual_fmac_f32 v41, v52, v18 :: v_dual_fmac_f32 v22, v51, v36
	s_delay_alu instid0(VALU_DEP_3)
	v_fma_f32 v43, v26, v18, -v17
	v_fma_f32 v40, v27, v20, -v21
	;; [unrolled: 1-line block ×4, first 2 shown]
	global_wb scope:SCOPE_SE
	s_wait_loadcnt_dscnt 0x0
	s_barrier_signal -1
	v_mul_f32_e32 v24, v66, v59
	v_dual_mul_f32 v9, v11, v55 :: v_dual_mul_f32 v42, v14, v65
	v_mul_f32_e32 v35, v48, v55
	s_barrier_wait -1
	s_delay_alu instid0(VALU_DEP_3) | instskip(NEXT) | instid1(VALU_DEP_3)
	v_dual_fmac_f32 v24, v46, v58 :: v_dual_mul_f32 v33, v67, v61
	v_fmac_f32_e32 v42, v45, v64
	s_delay_alu instid0(VALU_DEP_3) | instskip(NEXT) | instid1(VALU_DEP_3)
	v_fma_f32 v20, v11, v54, -v35
	v_dual_mul_f32 v39, v13, v63 :: v_dual_add_f32 v18, v22, v24
	s_delay_alu instid0(VALU_DEP_4)
	v_fmac_f32_e32 v33, v47, v60
	v_mul_f32_e32 v55, v46, v59
	v_mul_f32_e32 v19, v12, v57
	;; [unrolled: 1-line block ×3, first 2 shown]
	global_inv scope:SCOPE_SE
	v_add_f32_e32 v16, v32, v33
	v_fma_f32 v30, v66, v58, -v55
	s_delay_alu instid0(VALU_DEP_1) | instskip(SKIP_4) | instid1(VALU_DEP_1)
	v_sub_f32_e32 v27, v26, v30
	v_fmac_f32_e32 v39, v44, v62
	v_mul_f32_e32 v37, v49, v57
	v_mul_f32_e32 v57, v47, v61
	;; [unrolled: 1-line block ×3, first 2 shown]
	v_fma_f32 v36, v14, v64, -v61
	v_add_f32_e32 v14, v38, v39
	v_fma_f32 v21, v12, v56, -v37
	v_fma_f32 v37, v13, v62, -v59
	s_delay_alu instid0(VALU_DEP_2) | instskip(NEXT) | instid1(VALU_DEP_2)
	v_dual_sub_f32 v13, v43, v36 :: v_dual_sub_f32 v44, v20, v21
	v_sub_f32_e32 v15, v40, v37
	s_delay_alu instid0(VALU_DEP_2) | instskip(NEXT) | instid1(VALU_DEP_3)
	v_mul_f32_e32 v46, 0xbf68dda4, v13
	v_mul_f32_e32 v64, 0x3f68dda4, v44
	s_delay_alu instid0(VALU_DEP_3)
	v_mul_f32_e32 v50, 0xbf4178ce, v15
	v_fma_f32 v35, v67, v60, -v57
	v_mul_f32_e32 v52, 0x3f7d64f0, v15
	v_mul_f32_e32 v61, 0xbe903f40, v44
	;; [unrolled: 1-line block ×4, first 2 shown]
	v_dual_sub_f32 v17, v34, v35 :: v_dual_mul_f32 v44, 0xbf7d64f0, v44
	v_dual_fmac_f32 v9, v48, v54 :: v_dual_mul_f32 v48, 0xbf4178ce, v13
	v_dual_add_f32 v11, v7, v41 :: v_dual_add_f32 v12, v41, v42
	s_delay_alu instid0(VALU_DEP_3) | instskip(NEXT) | instid1(VALU_DEP_2)
	v_dual_fmac_f32 v19, v49, v56 :: v_dual_mul_f32 v56, 0xbf0a6770, v17
	v_dual_mul_f32 v54, 0x3e903f40, v17 :: v_dual_add_f32 v11, v11, v38
	s_delay_alu instid0(VALU_DEP_2)
	v_dual_fmamk_f32 v72, v14, 0xbe11bafb, v52 :: v_dual_add_f32 v29, v9, v19
	v_fmamk_f32 v70, v14, 0xbf27a4f4, v50
	v_fmamk_f32 v66, v12, 0x3ed4b147, v46
	v_mul_f32_e32 v47, 0xbf7d64f0, v13
	v_dual_add_f32 v11, v11, v32 :: v_dual_fmamk_f32 v74, v16, 0xbf75a155, v54
	v_fma_f32 v46, 0x3ed4b147, v12, -v46
	v_mul_f32_e32 v45, 0xbf0a6770, v13
	v_fmamk_f32 v68, v12, 0xbf27a4f4, v48
	v_mul_f32_e32 v60, 0xbe903f40, v27
	v_fma_f32 v48, 0xbf27a4f4, v12, -v48
	v_dual_add_f32 v46, v7, v46 :: v_dual_mul_f32 v13, 0xbe903f40, v13
	v_dual_fmamk_f32 v65, v12, 0x3f575c64, v45 :: v_dual_fmamk_f32 v82, v29, 0x3f575c64, v62
	v_mul_f32_e32 v49, 0xbf68dda4, v15
	v_dual_fmamk_f32 v80, v18, 0xbf75a155, v60 :: v_dual_add_f32 v11, v11, v22
	s_delay_alu instid0(VALU_DEP_4)
	v_dual_add_f32 v48, v7, v48 :: v_dual_fmamk_f32 v69, v12, 0xbf75a155, v13
	v_mul_f32_e32 v51, 0x3e903f40, v15
	v_mul_f32_e32 v58, 0x3f7d64f0, v27
	v_fma_f32 v45, 0x3f575c64, v12, -v45
	v_fmamk_f32 v67, v12, 0xbe11bafb, v47
	v_fma_f32 v47, 0xbe11bafb, v12, -v47
	v_fma_f32 v12, 0xbf75a155, v12, -v13
	v_fmamk_f32 v78, v18, 0xbe11bafb, v58
	v_dual_fmamk_f32 v13, v14, 0x3ed4b147, v49 :: v_dual_fmamk_f32 v84, v29, 0x3ed4b147, v64
	v_mul_f32_e32 v15, 0x3f0a6770, v15
	v_fmamk_f32 v71, v14, 0xbf75a155, v51
	v_mul_f32_e32 v53, 0xbf7d64f0, v17
	v_add_f32_e32 v11, v11, v9
	v_mul_f32_e32 v57, 0xbf4178ce, v27
	v_fma_f32 v49, 0x3ed4b147, v14, -v49
	v_fma_f32 v50, 0xbf27a4f4, v14, -v50
	;; [unrolled: 1-line block ×4, first 2 shown]
	v_mul_f32_e32 v55, 0x3f68dda4, v17
	v_dual_fmamk_f32 v73, v14, 0x3f575c64, v15 :: v_dual_fmamk_f32 v76, v16, 0x3f575c64, v56
	v_mul_f32_e32 v17, 0xbf4178ce, v17
	v_fma_f32 v14, 0x3f575c64, v14, -v15
	v_fmamk_f32 v15, v16, 0xbe11bafb, v53
	v_mul_f32_e32 v59, 0xbf0a6770, v27
	v_mul_f32_e32 v27, 0x3f68dda4, v27
	v_add_f32_e32 v11, v11, v19
	v_fma_f32 v53, 0xbe11bafb, v16, -v53
	v_fma_f32 v54, 0xbf75a155, v16, -v54
	;; [unrolled: 1-line block ×5, first 2 shown]
	v_fmamk_f32 v81, v18, 0x3ed4b147, v27
	v_fmamk_f32 v79, v18, 0x3f575c64, v59
	;; [unrolled: 1-line block ×3, first 2 shown]
	v_fma_f32 v59, 0x3f575c64, v18, -v59
	v_fma_f32 v62, 0x3f575c64, v29, -v62
	v_fmamk_f32 v83, v29, 0xbf27a4f4, v63
	v_fma_f32 v63, 0xbf27a4f4, v29, -v63
	v_fma_f32 v64, 0x3ed4b147, v29, -v64
	v_fmamk_f32 v85, v29, 0xbe11bafb, v44
	v_add_f32_e32 v45, v7, v45
	v_dual_add_f32 v47, v7, v47 :: v_dual_add_f32 v48, v52, v48
	v_fmamk_f32 v75, v16, 0x3ed4b147, v55
	v_fma_f32 v55, 0x3ed4b147, v16, -v55
	v_fma_f32 v16, 0xbf27a4f4, v16, -v17
	v_fmamk_f32 v17, v18, 0xbf27a4f4, v57
	v_fma_f32 v57, 0xbf27a4f4, v18, -v57
	v_fma_f32 v18, 0x3ed4b147, v18, -v27
	;; [unrolled: 3-line block ×3, first 2 shown]
	v_add_f32_e32 v44, v7, v65
	v_add_f32_e32 v65, v7, v66
	;; [unrolled: 1-line block ×8, first 2 shown]
	v_dual_add_f32 v44, v70, v65 :: v_dual_add_f32 v47, v51, v47
	s_delay_alu instid0(VALU_DEP_4)
	v_add_f32_e32 v11, v11, v33
	v_add_f32_e32 v13, v49, v45
	v_dual_add_f32 v45, v50, v46 :: v_dual_add_f32 v50, v73, v68
	v_add_f32_e32 v49, v72, v67
	v_dual_add_f32 v7, v14, v7 :: v_dual_add_f32 v12, v15, v12
	v_add_f32_e32 v14, v74, v44
	s_delay_alu instid0(VALU_DEP_4) | instskip(SKIP_4) | instid1(VALU_DEP_2)
	v_add_f32_e32 v15, v54, v45
	v_add_f32_e32 v45, v55, v47
	v_dual_add_f32 v47, v56, v48 :: v_dual_add_f32 v48, v77, v50
	v_add_f32_e32 v46, v71, v66
	v_dual_add_f32 v14, v78, v14 :: v_dual_add_f32 v7, v16, v7
	v_dual_add_f32 v15, v58, v15 :: v_dual_add_f32 v44, v75, v46
	v_add_f32_e32 v46, v76, v49
	s_delay_alu instid0(VALU_DEP_3) | instskip(NEXT) | instid1(VALU_DEP_3)
	v_add_f32_e32 v18, v18, v7
	v_add_f32_e32 v16, v79, v44
	s_delay_alu instid0(VALU_DEP_3)
	v_add_f32_e32 v44, v80, v46
	v_dual_add_f32 v12, v17, v12 :: v_dual_add_f32 v17, v59, v45
	v_add_f32_e32 v45, v60, v47
	v_add_f32_e32 v47, v82, v14
	v_dual_add_f32 v14, v62, v15 :: v_dual_add_f32 v15, v83, v16
	v_add_f32_e32 v16, v84, v44
	v_dual_add_f32 v44, v11, v39 :: v_dual_add_f32 v13, v53, v13
	v_add_f32_e32 v46, v81, v48
	v_dual_add_f32 v27, v27, v12 :: v_dual_add_f32 v12, v64, v45
	v_add_f32_e32 v11, v29, v18
	s_delay_alu instid0(VALU_DEP_4) | instskip(NEXT) | instid1(VALU_DEP_4)
	v_add_f32_e32 v13, v57, v13
	v_add_f32_e32 v45, v85, v46
	ds_store_2addr_b32 v0, v47, v15 offset0:34 offset1:51
	v_add_f32_e32 v15, v44, v42
	v_add_f32_e32 v7, v61, v13
	;; [unrolled: 1-line block ×3, first 2 shown]
	ds_store_2addr_b32 v0, v16, v45 offset0:68 offset1:85
	ds_store_2addr_b32 v0, v11, v12 offset0:102 offset1:119
	;; [unrolled: 1-line block ×3, first 2 shown]
	ds_store_b32 v0, v7 offset:680
	ds_store_2addr_b32 v0, v15, v27 offset1:17
	global_wb scope:SCOPE_SE
	s_wait_dscnt 0x0
	s_barrier_signal -1
	s_barrier_wait -1
	global_inv scope:SCOPE_SE
	ds_load_2addr_b32 v[15:16], v23 offset0:59 offset1:246
	ds_load_2addr_b32 v[17:18], v25 offset0:49 offset1:236
	ds_load_b32 v27, v28
	ds_load_b32 v29, v4 offset:3740
	s_and_saveexec_b32 s1, s0
	s_cbranch_execz .LBB0_17
; %bb.16:
	v_add_nc_u32_e32 v7, 0x100, v4
	v_add_nc_u32_e32 v8, 0x700, v4
	;; [unrolled: 1-line block ×3, first 2 shown]
	ds_load_2addr_b32 v[11:12], v7 offset0:38 offset1:225
	ds_load_2addr_b32 v[13:14], v8 offset0:28 offset1:215
	;; [unrolled: 1-line block ×3, first 2 shown]
.LBB0_17:
	s_wait_alu 0xfffe
	s_or_b32 exec_lo, exec_lo, s1
	v_dual_add_f32 v44, v31, v43 :: v_dual_sub_f32 v41, v41, v42
	v_dual_add_f32 v43, v43, v36 :: v_dual_add_f32 v42, v40, v37
	s_delay_alu instid0(VALU_DEP_2)
	v_dual_sub_f32 v38, v38, v39 :: v_dual_add_f32 v39, v44, v40
	global_wb scope:SCOPE_SE
	s_wait_dscnt 0x0
	v_mul_f32_e32 v40, 0x3f575c64, v43
	v_dual_mul_f32 v44, 0x3ed4b147, v43 :: v_dual_mul_f32 v47, 0x3ed4b147, v42
	v_dual_add_f32 v39, v39, v34 :: v_dual_mul_f32 v46, 0xbf27a4f4, v43
	s_barrier_signal -1
	s_barrier_wait -1
	global_inv scope:SCOPE_SE
	v_add_f32_e32 v39, v39, v26
	v_mul_f32_e32 v48, 0xbf27a4f4, v42
	v_sub_f32_e32 v32, v32, v33
	v_add_f32_e32 v34, v34, v35
	v_sub_f32_e32 v22, v22, v24
	v_dual_add_f32 v39, v39, v20 :: v_dual_fmamk_f32 v50, v41, 0x3f0a6770, v40
	v_fmamk_f32 v55, v38, 0x3f4178ce, v48
	s_delay_alu instid0(VALU_DEP_4) | instskip(NEXT) | instid1(VALU_DEP_3)
	v_mul_f32_e32 v33, 0xbe11bafb, v34
	v_dual_add_f32 v26, v26, v30 :: v_dual_add_f32 v39, v39, v21
	s_delay_alu instid0(VALU_DEP_4) | instskip(SKIP_1) | instid1(VALU_DEP_3)
	v_dual_mul_f32 v45, 0xbe11bafb, v43 :: v_dual_add_f32 v50, v31, v50
	v_fmac_f32_e32 v40, 0xbf0a6770, v41
	v_dual_add_f32 v20, v20, v21 :: v_dual_add_f32 v39, v39, v30
	v_mul_f32_e32 v43, 0xbf75a155, v43
	s_delay_alu instid0(VALU_DEP_4) | instskip(NEXT) | instid1(VALU_DEP_4)
	v_fmamk_f32 v52, v41, 0x3f7d64f0, v45
	v_add_f32_e32 v40, v31, v40
	v_fmac_f32_e32 v48, 0xbf4178ce, v38
	v_fmamk_f32 v53, v41, 0x3f4178ce, v46
	v_dual_fmac_f32 v46, 0xbf4178ce, v41 :: v_dual_add_f32 v39, v39, v35
	v_dual_fmamk_f32 v51, v41, 0x3f68dda4, v44 :: v_dual_add_f32 v52, v31, v52
	v_fmac_f32_e32 v44, 0xbf68dda4, v41
	v_fmamk_f32 v54, v41, 0x3e903f40, v43
	v_fmac_f32_e32 v45, 0xbf7d64f0, v41
	v_add_f32_e32 v37, v39, v37
	v_fmac_f32_e32 v43, 0xbe903f40, v41
	v_fmamk_f32 v41, v38, 0x3f68dda4, v47
	v_fmac_f32_e32 v47, 0xbf68dda4, v38
	v_dual_mul_f32 v49, 0xbf75a155, v42 :: v_dual_add_f32 v44, v31, v44
	v_add_f32_e32 v51, v31, v51
	v_dual_add_f32 v39, v31, v46 :: v_dual_add_f32 v36, v37, v36
	s_delay_alu instid0(VALU_DEP_4)
	v_add_f32_e32 v37, v47, v40
	v_mul_f32_e32 v47, 0xbe11bafb, v42
	v_mul_f32_e32 v42, 0x3f575c64, v42
	v_add_f32_e32 v46, v31, v54
	v_dual_add_f32 v45, v31, v45 :: v_dual_fmamk_f32 v40, v38, 0xbe903f40, v49
	v_dual_add_f32 v44, v48, v44 :: v_dual_add_f32 v53, v31, v53
	s_delay_alu instid0(VALU_DEP_4)
	v_dual_add_f32 v31, v31, v43 :: v_dual_fmamk_f32 v48, v38, 0xbf0a6770, v42
	v_dual_add_f32 v43, v55, v51 :: v_dual_fmac_f32 v42, 0x3f0a6770, v38
	v_fmamk_f32 v35, v38, 0xbf7d64f0, v47
	v_fmac_f32_e32 v47, 0x3f7d64f0, v38
	v_dual_fmac_f32 v49, 0x3e903f40, v38 :: v_dual_add_f32 v40, v40, v52
	v_add_f32_e32 v41, v41, v50
	v_add_f32_e32 v31, v42, v31
	s_delay_alu instid0(VALU_DEP_4) | instskip(SKIP_4) | instid1(VALU_DEP_4)
	v_dual_add_f32 v38, v47, v39 :: v_dual_add_f32 v39, v48, v46
	v_fmamk_f32 v46, v32, 0x3f7d64f0, v33
	v_mul_f32_e32 v47, 0xbf75a155, v34
	v_fmac_f32_e32 v33, 0xbf7d64f0, v32
	v_mul_f32_e32 v42, 0x3ed4b147, v34
	v_dual_mul_f32 v30, 0xbf27a4f4, v34 :: v_dual_add_f32 v41, v46, v41
	s_delay_alu instid0(VALU_DEP_4) | instskip(SKIP_3) | instid1(VALU_DEP_4)
	v_fmamk_f32 v46, v32, 0xbe903f40, v47
	v_fmac_f32_e32 v47, 0x3e903f40, v32
	v_add_f32_e32 v33, v33, v37
	v_fmamk_f32 v37, v32, 0xbf68dda4, v42
	v_dual_fmac_f32 v42, 0x3f68dda4, v32 :: v_dual_add_f32 v43, v46, v43
	s_delay_alu instid0(VALU_DEP_4) | instskip(SKIP_1) | instid1(VALU_DEP_4)
	v_dual_add_f32 v44, v47, v44 :: v_dual_add_f32 v45, v49, v45
	v_mul_f32_e32 v46, 0x3f575c64, v34
	v_dual_mul_f32 v24, 0xbf27a4f4, v26 :: v_dual_add_f32 v37, v37, v40
	s_delay_alu instid0(VALU_DEP_3) | instskip(NEXT) | instid1(VALU_DEP_3)
	v_dual_sub_f32 v19, v9, v19 :: v_dual_add_f32 v40, v42, v45
	v_fmamk_f32 v34, v32, 0x3f0a6770, v46
	v_fmac_f32_e32 v46, 0xbf0a6770, v32
	v_fmamk_f32 v42, v32, 0x3f4178ce, v30
	v_fmac_f32_e32 v30, 0xbf4178ce, v32
	;; [unrolled: 2-line block ×3, first 2 shown]
	s_delay_alu instid0(VALU_DEP_2) | instskip(NEXT) | instid1(VALU_DEP_2)
	v_dual_add_f32 v30, v30, v31 :: v_dual_add_f32 v31, v32, v41
	v_add_f32_e32 v24, v24, v33
	v_add_f32_e32 v35, v35, v53
	s_delay_alu instid0(VALU_DEP_1) | instskip(SKIP_3) | instid1(VALU_DEP_1)
	v_add_f32_e32 v34, v34, v35
	v_add_f32_e32 v35, v46, v38
	;; [unrolled: 1-line block ×3, first 2 shown]
	v_mul_f32_e32 v32, 0x3f575c64, v26
	v_fmamk_f32 v42, v22, 0x3f0a6770, v32
	v_fmac_f32_e32 v32, 0xbf0a6770, v22
	v_mul_f32_e32 v39, 0xbe11bafb, v26
	s_delay_alu instid0(VALU_DEP_2) | instskip(NEXT) | instid1(VALU_DEP_2)
	v_dual_add_f32 v37, v42, v37 :: v_dual_add_f32 v32, v32, v40
	v_fmamk_f32 v41, v22, 0xbf7d64f0, v39
	v_mul_f32_e32 v33, 0xbf75a155, v26
	v_mul_f32_e32 v26, 0x3ed4b147, v26
	s_delay_alu instid0(VALU_DEP_3) | instskip(NEXT) | instid1(VALU_DEP_3)
	v_dual_mul_f32 v40, 0x3ed4b147, v20 :: v_dual_add_f32 v41, v41, v43
	v_fmamk_f32 v43, v22, 0x3e903f40, v33
	v_fmac_f32_e32 v33, 0xbe903f40, v22
	s_delay_alu instid0(VALU_DEP_1) | instskip(SKIP_3) | instid1(VALU_DEP_3)
	v_dual_add_f32 v34, v43, v34 :: v_dual_add_f32 v33, v33, v35
	v_fmamk_f32 v21, v22, 0xbf68dda4, v26
	v_fmac_f32_e32 v26, 0x3f68dda4, v22
	v_mul_f32_e32 v9, 0xbf75a155, v20
	v_add_f32_e32 v35, v21, v38
	s_delay_alu instid0(VALU_DEP_3) | instskip(SKIP_1) | instid1(VALU_DEP_2)
	v_dual_add_f32 v26, v26, v30 :: v_dual_mul_f32 v21, 0x3f575c64, v20
	v_mul_f32_e32 v30, 0xbf27a4f4, v20
	v_fmamk_f32 v38, v19, 0xbf0a6770, v21
	v_fmac_f32_e32 v39, 0x3f7d64f0, v22
	v_fmamk_f32 v22, v19, 0x3e903f40, v9
	v_fmac_f32_e32 v9, 0xbe903f40, v19
	s_delay_alu instid0(VALU_DEP_4) | instskip(NEXT) | instid1(VALU_DEP_4)
	v_dual_fmac_f32 v21, 0x3f0a6770, v19 :: v_dual_add_f32 v38, v38, v41
	v_add_f32_e32 v39, v39, v44
	s_delay_alu instid0(VALU_DEP_4) | instskip(NEXT) | instid1(VALU_DEP_4)
	v_add_f32_e32 v31, v22, v31
	v_dual_add_f32 v9, v9, v24 :: v_dual_fmamk_f32 v24, v19, 0x3f4178ce, v30
	v_fmac_f32_e32 v30, 0xbf4178ce, v19
	s_delay_alu instid0(VALU_DEP_4) | instskip(SKIP_1) | instid1(VALU_DEP_4)
	v_dual_add_f32 v22, v21, v39 :: v_dual_mul_f32 v39, 0xbe11bafb, v20
	v_fmamk_f32 v20, v19, 0xbf68dda4, v40
	v_add_f32_e32 v24, v24, v37
	s_delay_alu instid0(VALU_DEP_4) | instskip(NEXT) | instid1(VALU_DEP_4)
	v_dual_fmac_f32 v40, 0x3f68dda4, v19 :: v_dual_add_f32 v21, v30, v32
	v_fmamk_f32 v37, v19, 0x3f7d64f0, v39
	s_delay_alu instid0(VALU_DEP_4) | instskip(NEXT) | instid1(VALU_DEP_3)
	v_dual_fmac_f32 v39, 0xbf7d64f0, v19 :: v_dual_add_f32 v30, v20, v34
	v_add_f32_e32 v20, v40, v33
	s_delay_alu instid0(VALU_DEP_2)
	v_dual_add_f32 v32, v37, v35 :: v_dual_add_f32 v19, v39, v26
	ds_store_2addr_b32 v0, v36, v31 offset1:17
	ds_store_2addr_b32 v0, v38, v24 offset0:34 offset1:51
	ds_store_2addr_b32 v0, v30, v32 offset0:68 offset1:85
	;; [unrolled: 1-line block ×4, first 2 shown]
	ds_store_b32 v0, v9 offset:680
	global_wb scope:SCOPE_SE
	s_wait_dscnt 0x0
	s_barrier_signal -1
	s_barrier_wait -1
	global_inv scope:SCOPE_SE
	ds_load_2addr_b32 v[23:24], v23 offset0:59 offset1:246
	ds_load_2addr_b32 v[25:26], v25 offset0:49 offset1:236
	ds_load_b32 v28, v28
	ds_load_b32 v30, v4 offset:3740
	s_and_saveexec_b32 s1, s0
	s_cbranch_execz .LBB0_19
; %bb.18:
	v_add_nc_u32_e32 v0, 0x100, v4
	v_add_nc_u32_e32 v9, 0x700, v4
	;; [unrolled: 1-line block ×3, first 2 shown]
	ds_load_2addr_b32 v[19:20], v0 offset0:38 offset1:225
	ds_load_2addr_b32 v[21:22], v9 offset0:28 offset1:215
	;; [unrolled: 1-line block ×3, first 2 shown]
.LBB0_19:
	s_wait_alu 0xfffe
	s_or_b32 exec_lo, exec_lo, s1
	s_and_saveexec_b32 s1, vcc_lo
	s_cbranch_execz .LBB0_22
; %bb.20:
	v_mul_u32_u24_e32 v0, 5, v3
	v_mul_lo_u32 v6, s2, v6
	s_delay_alu instid0(VALU_DEP_2)
	v_lshlrev_b32_e32 v0, 3, v0
	s_clause 0x2
	global_load_b128 v[31:34], v0, s[4:5] offset:1360
	global_load_b128 v[35:38], v0, s[4:5] offset:1376
	global_load_b64 v[39:40], v0, s[4:5] offset:1392
	v_mul_lo_u32 v0, s3, v5
	v_mad_co_u64_u32 v[4:5], null, s2, v5, 0
	s_delay_alu instid0(VALU_DEP_1) | instskip(SKIP_1) | instid1(VALU_DEP_2)
	v_add3_u32 v5, v5, v6, v0
	v_lshlrev_b64_e32 v[0:1], 3, v[1:2]
	v_lshlrev_b64_e32 v[5:6], 3, v[4:5]
	v_mov_b32_e32 v4, 0
	s_delay_alu instid0(VALU_DEP_2) | instskip(SKIP_1) | instid1(VALU_DEP_3)
	v_add_co_u32 v2, vcc_lo, s10, v5
	s_wait_alu 0xfffd
	v_add_co_ci_u32_e32 v41, vcc_lo, s11, v6, vcc_lo
	s_delay_alu instid0(VALU_DEP_2) | instskip(SKIP_1) | instid1(VALU_DEP_2)
	v_add_co_u32 v0, vcc_lo, v2, v0
	s_wait_alu 0xfffd
	v_add_co_ci_u32_e32 v1, vcc_lo, v41, v1, vcc_lo
	s_wait_loadcnt 0x1
	v_dual_mul_f32 v2, v16, v34 :: v_dual_mul_f32 v41, v17, v35
	v_mul_f32_e32 v17, v17, v36
	v_lshlrev_b64_e32 v[5:6], 3, v[3:4]
	s_wait_dscnt 0x3
	s_delay_alu instid0(VALU_DEP_3) | instskip(SKIP_2) | instid1(VALU_DEP_3)
	v_fma_f32 v2, v24, v33, -v2
	s_wait_dscnt 0x2
	v_fmac_f32_e32 v41, v25, v36
	v_add_co_u32 v0, vcc_lo, v0, v5
	s_wait_alu 0xfffd
	v_add_co_ci_u32_e32 v1, vcc_lo, v1, v6, vcc_lo
	v_mul_f32_e32 v6, v24, v34
	v_mul_f32_e32 v34, v26, v38
	v_dual_mul_f32 v5, v18, v38 :: v_dual_mul_f32 v38, v15, v31
	s_delay_alu instid0(VALU_DEP_2)
	v_dual_mul_f32 v15, v15, v32 :: v_dual_fmac_f32 v34, v18, v37
	s_wait_loadcnt 0x0
	v_mul_f32_e32 v42, v29, v39
	v_dual_mul_f32 v29, v29, v40 :: v_dual_fmac_f32 v6, v16, v33
	v_fma_f32 v16, v25, v35, -v17
	v_fma_f32 v5, v26, v37, -v5
	;; [unrolled: 1-line block ×3, first 2 shown]
	s_wait_dscnt 0x0
	v_fma_f32 v17, v30, v39, -v29
	v_dual_fmac_f32 v38, v23, v32 :: v_dual_sub_f32 v23, v6, v34
	v_add_f32_e32 v18, v2, v5
	s_delay_alu instid0(VALU_DEP_3) | instskip(SKIP_1) | instid1(VALU_DEP_4)
	v_add_f32_e32 v26, v16, v17
	v_dual_sub_f32 v25, v16, v17 :: v_dual_add_f32 v16, v15, v16
	v_add_f32_e32 v32, v38, v41
	s_delay_alu instid0(VALU_DEP_3) | instskip(SKIP_3) | instid1(VALU_DEP_3)
	v_fma_f32 v15, -0.5, v26, v15
	v_fmac_f32_e32 v42, v30, v40
	v_add_f32_e32 v30, v28, v2
	v_fma_f32 v28, -0.5, v18, v28
	v_sub_f32_e32 v29, v41, v42
	v_add_f32_e32 v26, v32, v42
	s_delay_alu instid0(VALU_DEP_2) | instskip(SKIP_3) | instid1(VALU_DEP_4)
	v_dual_add_f32 v31, v6, v34 :: v_dual_fmamk_f32 v32, v29, 0xbf5db3d7, v15
	v_fmac_f32_e32 v15, 0x3f5db3d7, v29
	v_sub_f32_e32 v2, v2, v5
	v_add_f32_e32 v24, v41, v42
	v_dual_add_f32 v6, v27, v6 :: v_dual_mul_f32 v29, 0xbf5db3d7, v32
	v_add_f32_e32 v16, v16, v17
	s_delay_alu instid0(VALU_DEP_3) | instskip(NEXT) | instid1(VALU_DEP_3)
	v_fma_f32 v18, -0.5, v24, v38
	v_add_f32_e32 v17, v6, v34
	v_add_f32_e32 v24, v30, v5
	v_fma_f32 v30, -0.5, v31, v27
	v_fmamk_f32 v27, v23, 0xbf5db3d7, v28
	v_fmamk_f32 v31, v25, 0x3f5db3d7, v18
	v_dual_fmac_f32 v18, 0xbf5db3d7, v25 :: v_dual_mul_f32 v25, 0.5, v15
	v_sub_f32_e32 v5, v17, v26
	s_delay_alu instid0(VALU_DEP_3)
	v_fmac_f32_e32 v29, -0.5, v31
	v_fmac_f32_e32 v28, 0x3f5db3d7, v23
	v_fmamk_f32 v23, v2, 0x3f5db3d7, v30
	v_fmac_f32_e32 v30, 0xbf5db3d7, v2
	v_mul_f32_e32 v2, -0.5, v32
	v_mul_f32_e32 v32, 0xbf5db3d7, v15
	v_fmac_f32_e32 v25, 0x3f5db3d7, v18
	v_add_f32_e32 v15, v17, v26
	s_delay_alu instid0(VALU_DEP_4) | instskip(NEXT) | instid1(VALU_DEP_4)
	v_dual_sub_f32 v17, v23, v29 :: v_dual_fmac_f32 v2, 0x3f5db3d7, v31
	v_fmac_f32_e32 v32, 0.5, v18
	v_sub_f32_e32 v6, v24, v16
	v_add_f32_e32 v16, v24, v16
	v_sub_f32_e32 v24, v28, v25
	v_sub_f32_e32 v18, v27, v2
	v_add_f32_e32 v26, v27, v2
	v_dual_add_f32 v28, v28, v25 :: v_dual_add_f32 v27, v30, v32
	v_add_f32_e32 v25, v23, v29
	v_sub_f32_e32 v23, v30, v32
	s_clause 0x5
	global_store_b64 v[0:1], v[15:16], off
	global_store_b64 v[0:1], v[27:28], off offset:1496
	global_store_b64 v[0:1], v[25:26], off offset:2992
	;; [unrolled: 1-line block ×5, first 2 shown]
	s_and_b32 exec_lo, exec_lo, s0
	s_cbranch_execz .LBB0_22
; %bb.21:
	v_mov_b32_e32 v2, 0x66
	s_delay_alu instid0(VALU_DEP_1) | instskip(NEXT) | instid1(VALU_DEP_1)
	v_cndmask_b32_e64 v2, 0xffffffab, v2, s0
	v_add_nc_u32_e32 v2, v3, v2
	s_delay_alu instid0(VALU_DEP_1) | instskip(NEXT) | instid1(VALU_DEP_1)
	v_mul_i32_i24_e32 v3, 5, v2
	v_lshlrev_b64_e32 v[2:3], 3, v[3:4]
	s_delay_alu instid0(VALU_DEP_1) | instskip(SKIP_1) | instid1(VALU_DEP_2)
	v_add_co_u32 v23, vcc_lo, s4, v2
	s_wait_alu 0xfffd
	v_add_co_ci_u32_e32 v24, vcc_lo, s5, v3, vcc_lo
	s_clause 0x2
	global_load_b128 v[2:5], v[23:24], off offset:1360
	global_load_b128 v[15:18], v[23:24], off offset:1376
	global_load_b64 v[23:24], v[23:24], off offset:1392
	s_wait_loadcnt 0x1
	v_dual_mul_f32 v25, v21, v5 :: v_dual_mul_f32 v26, v22, v16
	v_dual_mul_f32 v27, v9, v18 :: v_dual_mul_f32 v6, v20, v3
	v_mul_f32_e32 v5, v13, v5
	v_dual_mul_f32 v3, v12, v3 :: v_dual_mul_f32 v16, v14, v16
	s_delay_alu instid0(VALU_DEP_3)
	v_fmac_f32_e32 v27, v7, v17
	v_dual_mul_f32 v18, v7, v18 :: v_dual_fmac_f32 v25, v13, v4
	s_wait_loadcnt 0x0
	v_mul_f32_e32 v28, v10, v24
	v_mul_f32_e32 v24, v8, v24
	v_fmac_f32_e32 v6, v12, v2
	v_fma_f32 v12, v20, v2, -v3
	v_fma_f32 v2, v21, v4, -v5
	;; [unrolled: 1-line block ×4, first 2 shown]
	v_add_f32_e32 v7, v11, v25
	v_sub_f32_e32 v13, v25, v27
	v_fma_f32 v5, v10, v23, -v24
	v_fmac_f32_e32 v26, v14, v15
	v_dual_fmac_f32 v28, v8, v23 :: v_dual_sub_f32 v9, v2, v4
	v_dual_add_f32 v10, v19, v2 :: v_dual_add_f32 v17, v12, v3
	v_dual_add_f32 v2, v2, v4 :: v_dual_add_f32 v7, v7, v27
	v_sub_f32_e32 v16, v3, v5
	v_dual_add_f32 v3, v3, v5 :: v_dual_add_f32 v8, v25, v27
	s_delay_alu instid0(VALU_DEP_4) | instskip(NEXT) | instid1(VALU_DEP_2)
	v_dual_add_f32 v14, v6, v26 :: v_dual_add_f32 v5, v17, v5
	v_dual_fmac_f32 v19, -0.5, v2 :: v_dual_fmac_f32 v12, -0.5, v3
	s_delay_alu instid0(VALU_DEP_3) | instskip(SKIP_3) | instid1(VALU_DEP_4)
	v_fmac_f32_e32 v11, -0.5, v8
	v_add_f32_e32 v15, v26, v28
	v_sub_f32_e32 v18, v26, v28
	v_add_f32_e32 v8, v10, v4
	v_fmamk_f32 v10, v9, 0xbf5db3d7, v11
	s_delay_alu instid0(VALU_DEP_4)
	v_fmac_f32_e32 v6, -0.5, v15
	v_dual_add_f32 v4, v14, v28 :: v_dual_fmac_f32 v11, 0x3f5db3d7, v9
	v_fmamk_f32 v14, v13, 0x3f5db3d7, v19
	v_fmac_f32_e32 v19, 0xbf5db3d7, v13
	v_fmamk_f32 v13, v18, 0x3f5db3d7, v12
	v_add_f32_e32 v3, v8, v5
	v_fmamk_f32 v9, v16, 0xbf5db3d7, v6
	v_sub_f32_e32 v5, v8, v5
	s_delay_alu instid0(VALU_DEP_4) | instskip(SKIP_1) | instid1(VALU_DEP_2)
	v_dual_mul_f32 v15, 0xbf5db3d7, v13 :: v_dual_fmac_f32 v12, 0xbf5db3d7, v18
	v_dual_mul_f32 v13, 0.5, v13 :: v_dual_fmac_f32 v6, 0x3f5db3d7, v16
	v_dual_fmac_f32 v15, 0.5, v9 :: v_dual_mul_f32 v16, 0xbf5db3d7, v12
	s_delay_alu instid0(VALU_DEP_2) | instskip(NEXT) | instid1(VALU_DEP_2)
	v_fmac_f32_e32 v13, 0x3f5db3d7, v9
	v_dual_mul_f32 v17, -0.5, v12 :: v_dual_fmac_f32 v16, -0.5, v6
	s_delay_alu instid0(VALU_DEP_1) | instskip(NEXT) | instid1(VALU_DEP_3)
	v_dual_add_f32 v2, v7, v4 :: v_dual_fmac_f32 v17, 0x3f5db3d7, v6
	v_dual_sub_f32 v4, v7, v4 :: v_dual_add_f32 v7, v14, v13
	v_add_f32_e32 v6, v10, v15
	s_delay_alu instid0(VALU_DEP_4) | instskip(NEXT) | instid1(VALU_DEP_4)
	v_add_f32_e32 v8, v11, v16
	v_dual_add_f32 v9, v19, v17 :: v_dual_sub_f32 v10, v10, v15
	v_dual_sub_f32 v12, v11, v16 :: v_dual_sub_f32 v11, v14, v13
	v_sub_f32_e32 v13, v19, v17
	s_clause 0x5
	global_store_b64 v[0:1], v[2:3], off offset:816
	global_store_b64 v[0:1], v[6:7], off offset:2312
	;; [unrolled: 1-line block ×6, first 2 shown]
.LBB0_22:
	s_nop 0
	s_sendmsg sendmsg(MSG_DEALLOC_VGPRS)
	s_endpgm
	.section	.rodata,"a",@progbits
	.p2align	6, 0x0
	.amdhsa_kernel fft_rtc_back_len1122_factors_17_11_6_wgs_204_tpt_102_halfLds_sp_op_CI_CI_unitstride_sbrr_dirReg
		.amdhsa_group_segment_fixed_size 0
		.amdhsa_private_segment_fixed_size 0
		.amdhsa_kernarg_size 104
		.amdhsa_user_sgpr_count 2
		.amdhsa_user_sgpr_dispatch_ptr 0
		.amdhsa_user_sgpr_queue_ptr 0
		.amdhsa_user_sgpr_kernarg_segment_ptr 1
		.amdhsa_user_sgpr_dispatch_id 0
		.amdhsa_user_sgpr_private_segment_size 0
		.amdhsa_wavefront_size32 1
		.amdhsa_uses_dynamic_stack 0
		.amdhsa_enable_private_segment 0
		.amdhsa_system_sgpr_workgroup_id_x 1
		.amdhsa_system_sgpr_workgroup_id_y 0
		.amdhsa_system_sgpr_workgroup_id_z 0
		.amdhsa_system_sgpr_workgroup_info 0
		.amdhsa_system_vgpr_workitem_id 0
		.amdhsa_next_free_vgpr 86
		.amdhsa_next_free_sgpr 39
		.amdhsa_reserve_vcc 1
		.amdhsa_float_round_mode_32 0
		.amdhsa_float_round_mode_16_64 0
		.amdhsa_float_denorm_mode_32 3
		.amdhsa_float_denorm_mode_16_64 3
		.amdhsa_fp16_overflow 0
		.amdhsa_workgroup_processor_mode 1
		.amdhsa_memory_ordered 1
		.amdhsa_forward_progress 0
		.amdhsa_round_robin_scheduling 0
		.amdhsa_exception_fp_ieee_invalid_op 0
		.amdhsa_exception_fp_denorm_src 0
		.amdhsa_exception_fp_ieee_div_zero 0
		.amdhsa_exception_fp_ieee_overflow 0
		.amdhsa_exception_fp_ieee_underflow 0
		.amdhsa_exception_fp_ieee_inexact 0
		.amdhsa_exception_int_div_zero 0
	.end_amdhsa_kernel
	.text
.Lfunc_end0:
	.size	fft_rtc_back_len1122_factors_17_11_6_wgs_204_tpt_102_halfLds_sp_op_CI_CI_unitstride_sbrr_dirReg, .Lfunc_end0-fft_rtc_back_len1122_factors_17_11_6_wgs_204_tpt_102_halfLds_sp_op_CI_CI_unitstride_sbrr_dirReg
                                        ; -- End function
	.section	.AMDGPU.csdata,"",@progbits
; Kernel info:
; codeLenInByte = 11380
; NumSgprs: 41
; NumVgprs: 86
; ScratchSize: 0
; MemoryBound: 0
; FloatMode: 240
; IeeeMode: 1
; LDSByteSize: 0 bytes/workgroup (compile time only)
; SGPRBlocks: 5
; VGPRBlocks: 10
; NumSGPRsForWavesPerEU: 41
; NumVGPRsForWavesPerEU: 86
; Occupancy: 16
; WaveLimiterHint : 1
; COMPUTE_PGM_RSRC2:SCRATCH_EN: 0
; COMPUTE_PGM_RSRC2:USER_SGPR: 2
; COMPUTE_PGM_RSRC2:TRAP_HANDLER: 0
; COMPUTE_PGM_RSRC2:TGID_X_EN: 1
; COMPUTE_PGM_RSRC2:TGID_Y_EN: 0
; COMPUTE_PGM_RSRC2:TGID_Z_EN: 0
; COMPUTE_PGM_RSRC2:TIDIG_COMP_CNT: 0
	.text
	.p2alignl 7, 3214868480
	.fill 96, 4, 3214868480
	.type	__hip_cuid_f64772a16832289,@object ; @__hip_cuid_f64772a16832289
	.section	.bss,"aw",@nobits
	.globl	__hip_cuid_f64772a16832289
__hip_cuid_f64772a16832289:
	.byte	0                               ; 0x0
	.size	__hip_cuid_f64772a16832289, 1

	.ident	"AMD clang version 19.0.0git (https://github.com/RadeonOpenCompute/llvm-project roc-6.4.0 25133 c7fe45cf4b819c5991fe208aaa96edf142730f1d)"
	.section	".note.GNU-stack","",@progbits
	.addrsig
	.addrsig_sym __hip_cuid_f64772a16832289
	.amdgpu_metadata
---
amdhsa.kernels:
  - .args:
      - .actual_access:  read_only
        .address_space:  global
        .offset:         0
        .size:           8
        .value_kind:     global_buffer
      - .offset:         8
        .size:           8
        .value_kind:     by_value
      - .actual_access:  read_only
        .address_space:  global
        .offset:         16
        .size:           8
        .value_kind:     global_buffer
      - .actual_access:  read_only
        .address_space:  global
        .offset:         24
        .size:           8
        .value_kind:     global_buffer
      - .actual_access:  read_only
        .address_space:  global
        .offset:         32
        .size:           8
        .value_kind:     global_buffer
      - .offset:         40
        .size:           8
        .value_kind:     by_value
      - .actual_access:  read_only
        .address_space:  global
        .offset:         48
        .size:           8
        .value_kind:     global_buffer
      - .actual_access:  read_only
        .address_space:  global
        .offset:         56
        .size:           8
        .value_kind:     global_buffer
      - .offset:         64
        .size:           4
        .value_kind:     by_value
      - .actual_access:  read_only
        .address_space:  global
        .offset:         72
        .size:           8
        .value_kind:     global_buffer
      - .actual_access:  read_only
        .address_space:  global
        .offset:         80
        .size:           8
        .value_kind:     global_buffer
      - .actual_access:  read_only
        .address_space:  global
        .offset:         88
        .size:           8
        .value_kind:     global_buffer
      - .actual_access:  write_only
        .address_space:  global
        .offset:         96
        .size:           8
        .value_kind:     global_buffer
    .group_segment_fixed_size: 0
    .kernarg_segment_align: 8
    .kernarg_segment_size: 104
    .language:       OpenCL C
    .language_version:
      - 2
      - 0
    .max_flat_workgroup_size: 204
    .name:           fft_rtc_back_len1122_factors_17_11_6_wgs_204_tpt_102_halfLds_sp_op_CI_CI_unitstride_sbrr_dirReg
    .private_segment_fixed_size: 0
    .sgpr_count:     41
    .sgpr_spill_count: 0
    .symbol:         fft_rtc_back_len1122_factors_17_11_6_wgs_204_tpt_102_halfLds_sp_op_CI_CI_unitstride_sbrr_dirReg.kd
    .uniform_work_group_size: 1
    .uses_dynamic_stack: false
    .vgpr_count:     86
    .vgpr_spill_count: 0
    .wavefront_size: 32
    .workgroup_processor_mode: 1
amdhsa.target:   amdgcn-amd-amdhsa--gfx1201
amdhsa.version:
  - 1
  - 2
...

	.end_amdgpu_metadata
